;; amdgpu-corpus repo=ROCm/aiter kind=harvested arch=n/a opt=n/a

/root/src/amdgpu-assembly/repos/ROCm__aiter/hsa/gfx950/pa/pa_fp16_pertokenFp8_gqa16_1tg_4w_mtp_msk0.co:	file format elf64-amdgpu

Disassembly of section .text:

0000000000002200 <_ZN5aiter41pa_fp16_pertokenFp8_gqa16_1tg_4w_mtp_msk0E>:
	s_and_b32 s1, s1, 0xffff                                   // 000000002200: 8601FF01 0000FFFF
	s_load_dwordx2 s[8:9], s[0:1], 0x0                         // 000000002208: C0060200 00000000
	s_load_dwordx2 s[12:13], s[0:1], 0x10                      // 000000002210: C0060300 00000010
	s_load_dwordx2 s[16:17], s[0:1], 0x20                      // 000000002218: C0060400 00000020
	s_load_dwordx2 s[20:21], s[0:1], 0x30                      // 000000002220: C0060500 00000030
	s_load_dwordx2 s[24:25], s[0:1], 0x40                      // 000000002228: C0060600 00000040
	s_load_dwordx2 s[28:29], s[0:1], 0x50                      // 000000002230: C0060700 00000050
	s_load_dwordx2 s[32:33], s[0:1], 0x60                      // 000000002238: C0060800 00000060
	s_load_dwordx2 s[36:37], s[0:1], 0x70                      // 000000002240: C0060900 00000070
	s_load_dword s64, s[0:1], 0x80                             // 000000002248: C0021000 00000080
	s_load_dword s65, s[0:1], 0x90                             // 000000002250: C0021040 00000090
	s_load_dword s66, s[0:1], 0xa0                             // 000000002258: C0021080 000000A0
	s_load_dword s74, s[0:1], 0xb0                             // 000000002260: C0021280 000000B0
	s_load_dword s68, s[0:1], 0xc0                             // 000000002268: C0021100 000000C0
	s_load_dword s69, s[0:1], 0xd0                             // 000000002270: C0021140 000000D0
	s_load_dword s77, s[0:1], 0xe0                             // 000000002278: C0021340 000000E0
	s_load_dwordx2 s[80:81], s[0:1], 0xf0                      // 000000002280: C0061400 000000F0
	v_lshrrev_b32_e32 v1, 10, v0                               // 000000002288: 2002008A
	v_lshrrev_b32_e32 v2, 10, v1                               // 00000000228C: 2004028A
	v_and_b32_e32 v2, 0x3ff, v2                                // 000000002290: 260404FF 000003FF
	v_and_b32_e32 v1, 0x3ff, v1                                // 000000002298: 260202FF 000003FF
	v_and_b32_e32 v0, 0x3ff, v0                                // 0000000022A0: 260000FF 000003FF
	v_lshrrev_b32_e32 v3, 6, v0                                // 0000000022A8: 20060086
	v_and_b32_e32 v0, 63, v0                                   // 0000000022AC: 260000BF
	s_mov_b32 s2, s2                                           // 0000000022B0: BE820002
	s_mov_b32 s3, s3                                           // 0000000022B4: BE830003
	s_mov_b32 s4, s4                                           // 0000000022B8: BE840004
	v_readfirstlane_b32 s7, v3                                 // 0000000022BC: 7E0E0503
	s_waitcnt lgkmcnt(0)                                       // 0000000022C0: BF8CC07F
	s_mul_i32 s67, 0x100, s77                                  // 0000000022C4: 92434DFF 00000100
	s_mul_i32 s76, 0x100, s77                                  // 0000000022CC: 924C4DFF 00000100
	s_mul_i32 s75, s66, s76                                    // 0000000022D4: 924B4C42
	s_mul_i32 s60, s3, 4                                       // 0000000022D8: 923C8403
	s_and_b32 s29, s29, 0xffff                                 // 0000000022DC: 861DFF1D 0000FFFF
	s_add_u32 s28, s60, s28                                    // 0000000022E4: 801C1C3C
	s_addc_u32 s29, 0, s29                                     // 0000000022E8: 821D1D80
	s_load_dword s72, s[28:29], 0x0                            // 0000000022EC: C002120E 00000000
	s_mul_i32 s60, s3, 4                                       // 0000000022F4: 923C8403
	s_and_b32 s81, s81, 0xffff                                 // 0000000022F8: 8651FF51 0000FFFF
	s_add_u32 s80, s60, s80                                    // 000000002300: 8050503C
	s_addc_u32 s81, 0, s81                                     // 000000002304: 82515180
	s_load_dword s84, s[80:81], 0x0                            // 000000002308: C0021528 00000000
	s_load_dword s85, s[80:81], 0x4                            // 000000002310: C0021568 00000004
	s_mov_b32 s10, s76                                         // 000000002318: BE8A004C
	s_mov_b32 s14, s67                                         // 00000000231C: BE8E0043
	s_mul_i32 s60, 4, s65                                      // 000000002320: 923C4184
	s_mov_b32 s26, s60                                         // 000000002324: BE9A003C
	s_mov_b32 s34, 0x80000000                                  // 000000002328: BEA200FF 80000000
	s_mov_b32 s38, 0x80000000                                  // 000000002330: BEA600FF 80000000
	s_mov_b32 s18, 0x80000000                                  // 000000002338: BE9200FF 80000000
	s_mov_b32 s22, 0x80000000                                  // 000000002340: BE9600FF 80000000
	s_mov_b32 s11, 0x20000                                     // 000000002348: BE8B00FF 00020000
	s_mov_b32 s15, 0x20000                                     // 000000002350: BE8F00FF 00020000
	s_mov_b32 s19, 0x20000                                     // 000000002358: BE9300FF 00020000
	s_mov_b32 s23, 0x20000                                     // 000000002360: BE9700FF 00020000
	s_mov_b32 s27, 0x20000                                     // 000000002368: BE9B00FF 00020000
	s_mov_b32 s35, 0x20000                                     // 000000002370: BEA300FF 00020000
	s_mov_b32 s39, 0x20000                                     // 000000002378: BEA700FF 00020000
	s_and_b32 s9, s9, 0xffff                                   // 000000002380: 8609FF09 0000FFFF
	s_and_b32 s13, s13, 0xffff                                 // 000000002388: 860DFF0D 0000FFFF
	s_and_b32 s17, s17, 0xffff                                 // 000000002390: 8611FF11 0000FFFF
	s_and_b32 s21, s21, 0xffff                                 // 000000002398: 8615FF15 0000FFFF
	s_and_b32 s25, s25, 0xffff                                 // 0000000023A0: 8619FF19 0000FFFF
	s_and_b32 s33, s33, 0xffff                                 // 0000000023A8: 8621FF21 0000FFFF
	s_and_b32 s37, s37, 0xffff                                 // 0000000023B0: 8625FF25 0000FFFF
	s_or_b32 s9, s9, 0x40000                                   // 0000000023B8: 8709FF09 00040000
	s_or_b32 s13, s13, 0x40000                                 // 0000000023C0: 870DFF0D 00040000
	s_or_b32 s17, s17, 0x40000                                 // 0000000023C8: 8711FF11 00040000
	s_or_b32 s21, s21, 0x40000                                 // 0000000023D0: 8715FF15 00040000
	s_or_b32 s25, s25, 0x40000                                 // 0000000023D8: 8719FF19 00040000
	s_or_b32 s33, s33, 0x40000                                 // 0000000023E0: 8721FF21 00040000
	s_or_b32 s37, s37, 0x40000                                 // 0000000023E8: 8725FF25 00040000
	v_accvgpr_write_b32 a127, 0                                // 0000000023F0: D3D9407F 18000080
	v_mov_b32_e32 v255, 0                                      // 0000000023F8: 7FFE0280
	s_waitcnt lgkmcnt(0)                                       // 0000000023FC: BF8CC07F
	s_sub_u32 s86, s85, s84                                    // 000000002400: 80D65455
	s_mov_b32 s60, 2                                           // 000000002404: BEBC0082
	s_cmp_eq_i32 s60, s86                                      // 000000002408: BF00563C
	s_cbranch_scc1 label_10E5                                  // 00000000240C: BF851061
	s_mov_b32 s60, 3                                           // 000000002410: BEBC0083
	s_cmp_eq_i32 s60, s86                                      // 000000002414: BF00563C
	s_cbranch_scc1 label_2EF8                                  // 000000002418: BF852E71
	s_mov_b32 s60, 4                                           // 00000000241C: BEBC0084
	s_cmp_eq_i32 s60, s86                                      // 000000002420: BF00563C
	s_cbranch_scc1 label_5AF1                                  // 000000002424: BF855A67
	s_mul_i32 s60, s3, s65                                     // 000000002428: 923C4103
	s_mul_i32 s60, s60, 4                                      // 00000000242C: 923C843C
	s_add_u32 s24, s60, s24                                    // 000000002430: 8018183C
	s_addc_u32 s25, 0, s25                                     // 000000002434: 82191980
	s_mov_b32 s56, 64                                          // 000000002438: BEB800C0
	s_add_u32 s73, s72, 15                                     // 00000000243C: 80498F48
	s_lshr_b32 s73, s73, 4                                     // 000000002440: 8F498449
	s_mul_i32 s60, s73, 4                                      // 000000002444: 923C8449
	s_mov_b32 s26, s60                                         // 000000002448: BE9A003C
	v_and_b32_e32 v65, 3, v0                                   // 00000000244C: 26820083
	v_cmp_eq_u32_e64 s[60:61], 0, v65                          // 000000002450: D0CA003C 00028280
	v_and_b32_e32 v64, 12, v0                                  // 000000002458: 2680008C
	v_add_u32_e32 v1, s7, v64                                  // 00000000245C: 68028007
	v_cndmask_b32_e64 v1, 0, v1, s[60:61]                      // 000000002460: D1000001 00F20280
	v_and_b32_e32 v65, 3, v0                                   // 000000002468: 26820083
	v_cmp_eq_u32_e64 s[60:61], 1, v65                          // 00000000246C: D0CA003C 00028281
	v_lshrrev_b32_e32 v64, 4, v0                               // 000000002474: 20800084
	v_and_b32_e32 v65, 12, v0                                  // 000000002478: 2682008C
	v_add_u32_e32 v64, v65, v64                                // 00000000247C: 68808141
	v_cndmask_b32_e64 v64, 0, v64, s[60:61]                    // 000000002480: D1000040 00F28080
	v_add_u32_e32 v1, v1, v64                                  // 000000002488: 68028101
	v_lshlrev_b32_e32 v1, 2, v1                                // 00000000248C: 24020282
	buffer_load_dword v16, v1, s[24:27], 0 offen               // 000000002490: E0501000 80061001
	v_add_u32_e32 v1, s56, v1                                  // 000000002498: 68020238
	buffer_load_dword v17, v1, s[24:27], 0 offen               // 00000000249C: E0501000 80061101
	s_cmp_le_u32 s73, 32                                       // 0000000024A4: BF0BA049
	s_cselect_b32 s56, 0, s56                                  // 0000000024A8: 85383880
	s_mul_i32 s60, s2, s67                                     // 0000000024AC: 923C4302
	s_mul_i32 s61, s84, s74                                    // 0000000024B0: 923D4A54
	s_add_u32 s60, s60, s61                                    // 0000000024B4: 803C3D3C
	s_add_u32 s12, s60, s12                                    // 0000000024B8: 800C0C3C
	s_addc_u32 s13, 0, s13                                     // 0000000024BC: 820D0D80
	s_mul_i32 s60, s7, 0x108                                   // 0000000024C0: 923CFF07 00000108
	s_add_u32 m0, 0, s60                                       // 0000000024C8: 807C3C80
	s_mul_i32 s60, s7, 0x100                                   // 0000000024CC: 923CFF07 00000100
	v_lshlrev_b32_e32 v64, 2, v0                               // 0000000024D4: 24800082
	v_add_u32_e64 v64, v64, s60                                // 0000000024D8: D1340040 00007940
	buffer_load_dword v64, s[12:15], 0 offen lds               // 0000000024E0: E0511000 80030040
	s_mul_i32 s60, 4, 0x108                                    // 0000000024E8: 923CFF84 00000108
	s_add_u32 m0, m0, s60                                      // 0000000024F0: 807C3C7C
	v_add_u32_e32 v64, 0x400, v64                              // 0000000024F4: 688080FF 00000400
	buffer_load_dword v64, s[12:15], 0 offen lds               // 0000000024FC: E0511000 80030040
	s_mul_i32 s60, 4, 0x108                                    // 000000002504: 923CFF84 00000108
	s_add_u32 m0, m0, s60                                      // 00000000250C: 807C3C7C
	v_add_u32_e32 v64, 0x400, v64                              // 000000002510: 688080FF 00000400
	buffer_load_dword v64, s[12:15], 0 offen lds               // 000000002518: E0511000 80030040
	s_mul_i32 s60, 4, 0x108                                    // 000000002520: 923CFF84 00000108
	s_add_u32 m0, m0, s60                                      // 000000002528: 807C3C7C
	v_add_u32_e32 v64, 0x400, v64                              // 00000000252C: 688080FF 00000400
	buffer_load_dword v64, s[12:15], 0 offen lds               // 000000002534: E0511000 80030040
	s_mul_i32 s60, 4, 0x108                                    // 00000000253C: 923CFF84 00000108
	s_add_u32 m0, m0, s60                                      // 000000002544: 807C3C7C
	v_add_u32_e32 v64, 0x400, v64                              // 000000002548: 688080FF 00000400
	v_lshrrev_b32_e32 v64, 4, v0                               // 000000002550: 20800084
	v_lshlrev_b32_e32 v64, 2, v64                              // 000000002554: 24808082
	v_and_b32_e32 v65, 3, v0                                   // 000000002558: 26820083
	v_add_u32_e32 v64, v65, v64                                // 00000000255C: 68808141
	v_lshlrev_b32_e32 v59, 2, v64                              // 000000002560: 24768082
	v_mov_b32_e32 v60, v59                                     // 000000002564: 7E78033B
	s_mul_i32 s60, s2, 64                                      // 000000002568: 923CC002
	s_add_u32 s32, s60, s32                                    // 00000000256C: 8020203C
	s_addc_u32 s33, 0, s33                                     // 000000002570: 82212180
	s_add_u32 s36, s60, s36                                    // 000000002574: 8024243C
	s_addc_u32 s37, 0, s37                                     // 000000002578: 82252580
	s_mul_i32 s60, s2, s76                                     // 00000000257C: 923C4C02
	s_mul_i32 s61, s84, s75                                    // 000000002580: 923D4B54
	s_add_u32 s60, s60, s61                                    // 000000002584: 803C3D3C
	s_add_u32 s8, s60, s8                                      // 000000002588: 8008083C
	s_addc_u32 s9, 0, s9                                       // 00000000258C: 82090980
	s_mov_b32 s70, 0                                           // 000000002590: BEC60080
	s_and_b32 s71, s72, 0xffffff00                             // 000000002594: 8647FF48 FFFFFF00
	s_mov_b32 s42, 0xff00ff00                                  // 00000000259C: BEAA00FF FF00FF00
	s_mov_b32 s43, 0xff00ff00                                  // 0000000025A4: BEAB00FF FF00FF00
	s_mov_b32 s44, 0xf0f0f0f0                                  // 0000000025AC: BEAC00FF F0F0F0F0
	s_mov_b32 s45, 0xf0f0f0f0                                  // 0000000025B4: BEAD00FF F0F0F0F0
	s_mov_b32 s78, 0xff00ff                                    // 0000000025BC: BECE00FF 00FF00FF
	s_mov_b32 s79, 0xff00ff                                    // 0000000025C4: BECF00FF 00FF00FF
	v_mul_i32_i24_e64 v63, 64, s66                             // 0000000025CC: D106003F 000084C0
	v_mov_b32_e32 v54, s68                                     // 0000000025D4: 7E6C0244
	s_mov_b32 s52, 0x7060302                                   // 0000000025D8: BEB400FF 07060302
	s_mov_b32 s53, 0x400                                       // 0000000025E0: BEB500FF 00000400
	s_mov_b32 s54, 0x40100                                     // 0000000025E8: BEB600FF 00040100
	s_mov_b32 s55, 0x4020100                                   // 0000000025F0: BEB700FF 04020100
	s_mov_b32 s6, 0x3fb8aa3b                                   // 0000000025F8: BE8600FF 3FB8AA3B
	v_mov_b32_e32 v11, 0xff800000                              // 000000002600: 7E1602FF FF800000
	v_mov_b32_e32 v49, 0                                       // 000000002608: 7E620280
	v_mov_b32_e32 v38, 0                                       // 00000000260C: 7E4C0280
	v_mov_b32_e32 v44, 0                                       // 000000002610: 7E580280
	v_add_u32_e32 v1, s56, v1                                  // 000000002614: 68020238
	v_and_b32_e32 v7, 15, v0                                   // 000000002618: 260E008F
	v_lshlrev_b32_e32 v7, 2, v7                                // 00000000261C: 240E0E82
	v_lshlrev_b32_e32 v8, 2, v0                                // 000000002620: 24100082
	s_mul_i32 s60, 0x100, s7                                   // 000000002624: 923C07FF 00000100
	v_add_u32_e32 v8, s60, v8                                  // 00000000262C: 6810103C
	v_lshrrev_b32_e32 v64, 4, v0                               // 000000002630: 20800084
	v_lshlrev_b32_e32 v65, 6, v64                              // 000000002634: 24828086
	v_and_b32_e32 v64, 15, v0                                  // 000000002638: 2680008F
	v_lshlrev_b32_e32 v64, 1, v64                              // 00000000263C: 24808081
	v_add_u32_e32 v65, v64, v65                                // 000000002640: 68828340
	v_lshlrev_b32_e32 v9, 2, v65                               // 000000002644: 24128282
	v_lshrrev_b32_e32 v64, 5, v0                               // 000000002648: 20800085
	v_lshlrev_b32_e32 v65, 5, v64                              // 00000000264C: 24828085
	v_and_b32_e32 v64, 31, v0                                  // 000000002650: 2680009F
	v_lshrrev_b32_e32 v66, 4, v64                              // 000000002654: 20848084
	v_add_u32_e32 v65, v66, v65                                // 000000002658: 68828342
	v_and_b32_e32 v64, 15, v0                                  // 00000000265C: 2680008F
	v_lshlrev_b32_e32 v64, 1, v64                              // 000000002660: 24808081
	v_add_u32_e32 v65, v64, v65                                // 000000002664: 68828340
	v_lshlrev_b32_e32 v64, 2, v65                              // 000000002668: 24808282
	s_mul_i32 s60, 0x100, s7                                   // 00000000266C: 923C07FF 00000100
	v_add_u32_e64 v10, v64, s60                                // 000000002674: D134000A 00007940
	v_lshlrev_b32_e32 v5, 4, v0                                // 00000000267C: 240A0084
	s_mul_i32 s60, s2, s69                                     // 000000002680: 923C4502
	s_add_u32 s16, s60, s16                                    // 000000002684: 8010103C
	s_addc_u32 s17, 0, s17                                     // 000000002688: 82111180
	v_and_b32_e32 v64, 15, v0                                  // 00000000268C: 2680008F
	v_lshlrev_b32_e32 v6, 4, v64                               // 000000002690: 240C8084
	s_mul_i32 s61, s2, s69                                     // 000000002694: 923D4502
	s_mul_i32 s60, s7, 0x100                                   // 000000002698: 923CFF07 00000100
	s_add_u32 s60, s60, s61                                    // 0000000026A0: 803C3D3C
	s_add_u32 s20, s60, s20                                    // 0000000026A4: 8014143C
	s_addc_u32 s21, 0, s21                                     // 0000000026A8: 82151580
	s_waitcnt vmcnt(4)                                         // 0000000026AC: BF8C0F74
	v_mul_u32_u24_dpp v64, v16, v54 row_newbcast:0 row_mask:0xf bank_mask:0xf// 0000000026B0: 10806CFA FF015010
	v_mul_u32_u24_dpp v65, v16, v54 row_newbcast:4 row_mask:0xf bank_mask:0xf// 0000000026B8: 10826CFA FF015410
	v_mul_u32_u24_dpp v66, v16, v54 row_newbcast:8 row_mask:0xf bank_mask:0xf// 0000000026C0: 10846CFA FF015810
	v_mul_u32_u24_dpp v67, v16, v54 row_newbcast:12 row_mask:0xf bank_mask:0xf// 0000000026C8: 10866CFA FF015C10
	v_add_u32_e32 v22, v64, v5                                 // 0000000026D0: 682C0B40
	v_add_u32_e32 v23, v65, v5                                 // 0000000026D4: 682E0B41
	v_add_u32_e32 v24, v66, v5                                 // 0000000026D8: 68300B42
	v_add_u32_e32 v25, v67, v5                                 // 0000000026DC: 68320B43
	v_mul_u32_u24_dpp v64, v16, v54 row_newbcast:1 row_mask:0xf bank_mask:0xf// 0000000026E0: 10806CFA FF015110
	v_mul_u32_u24_dpp v65, v16, v54 row_newbcast:5 row_mask:0xf bank_mask:0xf// 0000000026E8: 10826CFA FF015510
	v_mul_u32_u24_dpp v66, v16, v54 row_newbcast:9 row_mask:0xf bank_mask:0xf// 0000000026F0: 10846CFA FF015910
	v_mul_u32_u24_dpp v67, v16, v54 row_newbcast:13 row_mask:0xf bank_mask:0xf// 0000000026F8: 10866CFA FF015D10
	v_add_u32_e32 v30, v64, v6                                 // 000000002700: 683C0D40
	v_add_u32_e32 v31, v65, v6                                 // 000000002704: 683E0D41
	v_add_u32_e32 v32, v66, v6                                 // 000000002708: 68400D42
	v_add_u32_e32 v33, v67, v6                                 // 00000000270C: 68420D43
	v_mul_u32_u24_dpp v64, v16, v63 quad_perm:[0,0,0,0] row_mask:0xf bank_mask:0xf// 000000002710: 10807EFA FF000010
	v_add_u32_e32 v2, v64, v59                                 // 000000002718: 68047740
	v_mul_u32_u24_dpp v64, v16, v63 quad_perm:[0,0,0,0] row_mask:0xf bank_mask:0xf// 00000000271C: 10807EFA FF000010
	v_add_u32_e32 v55, v64, v60                                // 000000002724: 686E7940
	buffer_load_dword v42, v2, s[32:35], 0 offen               // 000000002728: E0501000 80082A02
	buffer_load_dwordx4 a[0:3], v22, s[16:19], 0 offen         // 000000002730: E05C1000 80840016
	buffer_load_dwordx4 a[4:7], v22, s[16:19], 0 offen offset:1024// 000000002738: E05C1400 80840416
	buffer_load_dwordx4 a[8:11], v23, s[16:19], 0 offen        // 000000002740: E05C1000 80840817
	buffer_load_dwordx4 a[12:15], v23, s[16:19], 0 offen offset:1024// 000000002748: E05C1400 80840C17
	buffer_load_dwordx4 a[16:19], v24, s[16:19], 0 offen       // 000000002750: E05C1000 80841018
	buffer_load_dwordx4 a[20:23], v24, s[16:19], 0 offen offset:1024// 000000002758: E05C1400 80841418
	buffer_load_dwordx4 a[24:27], v25, s[16:19], 0 offen       // 000000002760: E05C1000 80841819
	buffer_load_dwordx4 a[28:31], v25, s[16:19], 0 offen offset:1024// 000000002768: E05C1400 80841C19
	buffer_load_dword v57, v55, s[36:39], 0 offen              // 000000002770: E0501000 80093937
	buffer_load_dwordx4 a[64:67], v30, s[20:23], 0 offen       // 000000002778: E05C1000 8085401E
	buffer_load_dwordx4 a[68:71], v31, s[20:23], 0 offen       // 000000002780: E05C1000 8085441F
	buffer_load_dwordx4 a[72:75], v32, s[20:23], 0 offen       // 000000002788: E05C1000 80854820
	buffer_load_dwordx4 a[76:79], v33, s[20:23], 0 offen       // 000000002790: E05C1000 80854C21
	buffer_load_dwordx4 a[80:83], v30, s[20:23], 0 offen offset:1024// 000000002798: E05C1400 8085501E
	buffer_load_dwordx4 a[84:87], v31, s[20:23], 0 offen offset:1024// 0000000027A0: E05C1400 8085541F
	buffer_load_dwordx4 a[88:91], v32, s[20:23], 0 offen offset:1024// 0000000027A8: E05C1400 80855820
	buffer_load_dwordx4 a[92:95], v33, s[20:23], 0 offen offset:1024// 0000000027B0: E05C1400 80855C21
	v_lshrrev_b32_e32 v64, 4, v0                               // 0000000027B8: 20800084
	v_lshlrev_b32_e32 v65, 1, v64                              // 0000000027BC: 24828081
	v_and_b32_e32 v64, 15, v0                                  // 0000000027C0: 2680008F
	v_mul_i32_i24_e32 v64, 0x42, v64                           // 0000000027C4: 0C8080FF 00000042
	v_add_u32_e32 v65, v64, v65                                // 0000000027CC: 68828340
	v_lshlrev_b32_e32 v4, 2, v65                               // 0000000027D0: 24088282
	s_mul_i32 s60, s7, 32                                      // 0000000027D4: 923CA007
	v_add_u32_e32 v4, s60, v4                                  // 0000000027D8: 6808083C
	s_waitcnt vmcnt(16) lgkmcnt(0)                             // 0000000027DC: BF8C4070
	s_barrier                                                  // 0000000027E0: BF8A0000
	ds_read_b64 v[80:81], v4                                   // 0000000027E4: D8EC0000 50000004
	ds_read_b64 v[84:85], v4 offset:128                        // 0000000027EC: D8EC0080 54000004
	s_waitcnt lgkmcnt(0)                                       // 0000000027F4: BF8CC07F
	v_and_b32_e32 v64, 0xffff, v80                             // 0000000027F8: 2680A0FF 0000FFFF
	v_lshrrev_b32_e32 v65, 16, v80                             // 000000002800: 2082A090
	v_and_b32_e32 v66, 0xffff, v81                             // 000000002804: 2684A2FF 0000FFFF
	v_lshrrev_b32_e32 v67, 16, v81                             // 00000000280C: 2086A290
	v_cvt_f32_f16_e32 v80, v64                                 // 000000002810: 7EA01740
	v_cvt_f32_f16_e32 v81, v65                                 // 000000002814: 7EA21741
	v_cvt_f32_f16_e32 v82, v66                                 // 000000002818: 7EA41742
	v_cvt_f32_f16_e32 v83, v67                                 // 00000000281C: 7EA61743
	v_and_b32_e32 v64, 0xffff, v84                             // 000000002820: 2680A8FF 0000FFFF
	v_lshrrev_b32_e32 v65, 16, v84                             // 000000002828: 2082A890
	v_and_b32_e32 v66, 0xffff, v85                             // 00000000282C: 2684AAFF 0000FFFF
	v_lshrrev_b32_e32 v67, 16, v85                             // 000000002834: 2086AA90
	v_cvt_f32_f16_e32 v84, v64                                 // 000000002838: 7EA81740
	v_cvt_f32_f16_e32 v85, v65                                 // 00000000283C: 7EAA1741
	v_cvt_f32_f16_e32 v86, v66                                 // 000000002840: 7EAC1742
	v_cvt_f32_f16_e32 v87, v67                                 // 000000002844: 7EAE1743
	v_mov_b32_e32 v48, 0x358637bd                              // 000000002848: 7E6002FF 358637BD
	v_max3_f32 v48, |v80|, |v81|, v48                          // 000000002850: D1D30330 04C2A350
	v_max3_f32 v48, |v82|, |v83|, v48                          // 000000002858: D1D30330 04C2A752
	v_max3_f32 v48, |v84|, |v85|, v48                          // 000000002860: D1D30330 04C2AB54
	v_max3_f32 v48, |v86|, |v87|, v48                          // 000000002868: D1D30330 04C2AF56
	ds_write_b32 v8, v48 offset:16896                          // 000000002870: D81A4200 00003008
	s_waitcnt lgkmcnt(0)                                       // 000000002878: BF8CC07F
	s_barrier                                                  // 00000000287C: BF8A0000
	ds_read_b32 v64, v7 offset:16896                           // 000000002880: D86C4200 40000007
	ds_read_b32 v65, v7 offset:16960                           // 000000002888: D86C4240 41000007
	ds_read_b32 v66, v7 offset:17024                           // 000000002890: D86C4280 42000007
	ds_read_b32 v67, v7 offset:17088                           // 000000002898: D86C42C0 43000007
	ds_read_b32 v68, v7 offset:17152                           // 0000000028A0: D86C4300 44000007
	ds_read_b32 v69, v7 offset:17216                           // 0000000028A8: D86C4340 45000007
	ds_read_b32 v70, v7 offset:17280                           // 0000000028B0: D86C4380 46000007
	ds_read_b32 v71, v7 offset:17344                           // 0000000028B8: D86C43C0 47000007
	ds_read_b32 v72, v7 offset:17408                           // 0000000028C0: D86C4400 48000007
	ds_read_b32 v73, v7 offset:17472                           // 0000000028C8: D86C4440 49000007
	ds_read_b32 v74, v7 offset:17536                           // 0000000028D0: D86C4480 4A000007
	ds_read_b32 v75, v7 offset:17600                           // 0000000028D8: D86C44C0 4B000007
	ds_read_b32 v76, v7 offset:17664                           // 0000000028E0: D86C4500 4C000007
	ds_read_b32 v77, v7 offset:17728                           // 0000000028E8: D86C4540 4D000007
	ds_read_b32 v78, v7 offset:17792                           // 0000000028F0: D86C4580 4E000007
	ds_read_b32 v79, v7 offset:17856                           // 0000000028F8: D86C45C0 4F000007
	s_waitcnt lgkmcnt(0)                                       // 000000002900: BF8CC07F
	v_max3_f32 v48, |v64|, |v65|, v48                          // 000000002904: D1D30330 04C28340
	v_max3_f32 v48, |v66|, |v67|, v48                          // 00000000290C: D1D30330 04C28742
	v_max3_f32 v48, |v68|, |v69|, v48                          // 000000002914: D1D30330 04C28B44
	v_max3_f32 v48, |v70|, |v71|, v48                          // 00000000291C: D1D30330 04C28F46
	v_max3_f32 v48, |v72|, |v73|, v48                          // 000000002924: D1D30330 04C29348
	v_max3_f32 v48, |v74|, |v75|, v48                          // 00000000292C: D1D30330 04C2974A
	v_max3_f32 v48, |v76|, |v77|, v48                          // 000000002934: D1D30330 04C29B4C
	v_max3_f32 v48, |v78|, |v79|, v48                          // 00000000293C: D1D30330 04C29F4E
	v_rcp_f32_e32 v48, v48                                     // 000000002944: 7E604530
	s_nop 1                                                    // 000000002948: BF800001
	v_mul_f32_e32 v48, 0x43e00000, v48                         // 00000000294C: 0A6060FF 43E00000
	v_mul_f32_e32 v80, v48, v80                                // 000000002954: 0AA0A130
	v_mul_f32_e32 v81, v48, v81                                // 000000002958: 0AA2A330
	v_mul_f32_e32 v82, v48, v82                                // 00000000295C: 0AA4A530
	v_mul_f32_e32 v83, v48, v83                                // 000000002960: 0AA6A730
	v_mul_f32_e32 v84, v48, v84                                // 000000002964: 0AA8A930
	v_mul_f32_e32 v85, v48, v85                                // 000000002968: 0AAAAB30
	v_mul_f32_e32 v86, v48, v86                                // 00000000296C: 0AACAD30
	v_mul_f32_e32 v87, v48, v87                                // 000000002970: 0AAEAF30
	v_rcp_f32_e32 v18, v48                                     // 000000002974: 7E244530
	v_cvt_pk_fp8_f32 v80, v80, v81                             // 000000002978: D2A20050 0002A350
	v_cvt_pk_fp8_f32 v80, v82, v83 op_sel:[0,0,1]              // 000000002980: D2A24050 0002A752
	v_cvt_pk_fp8_f32 v81, v84, v85                             // 000000002988: D2A20051 0002AB54
	v_cvt_pk_fp8_f32 v81, v86, v87 op_sel:[0,0,1]              // 000000002990: D2A24051 0002AF56
	ds_write_b32 v10, v80 offset:25088                         // 000000002998: D81A6200 0000500A
	ds_write_b32 v10, v81 offset:26112                         // 0000000029A0: D81A6600 0000510A
	s_waitcnt lgkmcnt(0)                                       // 0000000029A8: BF8CC07F
	s_barrier                                                  // 0000000029AC: BF8A0000
	ds_read_b64 v[80:81], v9 offset:25088                      // 0000000029B0: D8EC6200 50000009
	ds_read_b64 v[82:83], v9 offset:25216                      // 0000000029B8: D8EC6280 52000009
	ds_read_b64 v[84:85], v9 offset:26112                      // 0000000029C0: D8EC6600 54000009
	ds_read_b64 v[86:87], v9 offset:26240                      // 0000000029C8: D8EC6680 56000009
	v_mov_b32_e32 v208, 0                                      // 0000000029D0: 7FA00280
	v_mov_b32_e32 v209, 0                                      // 0000000029D4: 7FA20280
	v_mov_b32_e32 v210, 0                                      // 0000000029D8: 7FA40280
	v_mov_b32_e32 v211, 0                                      // 0000000029DC: 7FA60280
	v_mov_b32_e32 v212, 0                                      // 0000000029E0: 7FA80280
	v_mov_b32_e32 v213, 0                                      // 0000000029E4: 7FAA0280
	v_mov_b32_e32 v214, 0                                      // 0000000029E8: 7FAC0280
	v_mov_b32_e32 v215, 0                                      // 0000000029EC: 7FAE0280
	v_mov_b32_e32 v176, 0                                      // 0000000029F0: 7F600280
	v_mov_b32_e32 v177, 0                                      // 0000000029F4: 7F620280
	v_mov_b32_e32 v178, 0                                      // 0000000029F8: 7F640280
	v_mov_b32_e32 v179, 0                                      // 0000000029FC: 7F660280
	v_mov_b32_e32 v180, 0                                      // 000000002A00: 7F680280
	v_mov_b32_e32 v181, 0                                      // 000000002A04: 7F6A0280
	v_mov_b32_e32 v182, 0                                      // 000000002A08: 7F6C0280
	v_mov_b32_e32 v183, 0                                      // 000000002A0C: 7F6E0280
	s_waitcnt vmcnt(8) lgkmcnt(0)                              // 000000002A10: BF8C0078
	s_barrier                                                  // 000000002A14: BF8A0000
	s_cmp_lt_u32 s73, 16                                       // 000000002A18: BF0A9049
	s_cbranch_scc1 label_0B47                                  // 000000002A1C: BF85093F
	s_cmp_lt_i32 s7, 2                                         // 000000002A20: BF048207
	s_cbranch_scc0 label_06AA                                  // 000000002A24: BF8404A0

0000000000002a28 <label_020A>:
	s_waitcnt vmcnt(8) lgkmcnt(0)                              // 000000002A28: BF8C0078
	v_mul_u32_u24_dpp v64, v17, v54 row_newbcast:0 row_mask:0xf bank_mask:0xf// 000000002A2C: 10806CFA FF015011
	v_mul_u32_u24_dpp v65, v17, v54 row_newbcast:4 row_mask:0xf bank_mask:0xf// 000000002A34: 10826CFA FF015411
	v_mul_u32_u24_dpp v66, v17, v54 row_newbcast:8 row_mask:0xf bank_mask:0xf// 000000002A3C: 10846CFA FF015811
	v_mul_u32_u24_dpp v67, v17, v54 row_newbcast:12 row_mask:0xf bank_mask:0xf// 000000002A44: 10866CFA FF015C11
	v_add_u32_e32 v26, v64, v5                                 // 000000002A4C: 68340B40
	v_add_u32_e32 v27, v65, v5                                 // 000000002A50: 68360B41
	v_add_u32_e32 v28, v66, v5                                 // 000000002A54: 68380B42
	v_add_u32_e32 v29, v67, v5                                 // 000000002A58: 683A0B43
	v_mul_u32_u24_dpp v64, v17, v63 quad_perm:[0,0,0,0] row_mask:0xf bank_mask:0xf// 000000002A5C: 10807EFA FF000011
	v_add_u32_e32 v3, v64, v59                                 // 000000002A64: 68067740
	v_mul_u32_u24_dpp v64, v17, v63 quad_perm:[0,0,0,0] row_mask:0xf bank_mask:0xf// 000000002A68: 10807EFA FF000011
	v_add_u32_e32 v56, v64, v60                                // 000000002A70: 68707940
	v_mfma_f32_16x16x32_fp8_fp8 v[112:115], a[0:1], v[80:81], 0// 000000002A74: D3F30070 0A02A100
	v_mfma_f32_16x16x32_fp8_fp8 v[112:115], a[2:3], v[82:83], v[112:115]// 000000002A7C: D3F30070 0DC2A502
	buffer_load_dwordx4 a[32:35], v26, s[16:19], 0 offen       // 000000002A84: E05C1000 8084201A
	v_mfma_f32_16x16x32_fp8_fp8 v[112:115], a[4:5], v[84:85], v[112:115]// 000000002A8C: D3F30070 0DC2A904
	v_mfma_f32_16x16x32_fp8_fp8 v[112:115], a[6:7], v[86:87], v[112:115]// 000000002A94: D3F30070 0DC2AD06
	buffer_load_dword v16, v1, s[24:27], 0 offen               // 000000002A9C: E0501000 80061001
	v_mfma_f32_16x16x32_fp8_fp8 v[116:119], a[8:9], v[80:81], 0// 000000002AA4: D3F30074 0A02A108
	v_mfma_f32_16x16x32_fp8_fp8 v[116:119], a[10:11], v[82:83], v[116:119]// 000000002AAC: D3F30074 0DD2A50A
	buffer_load_dwordx4 a[36:39], v26, s[16:19], 0 offen offset:1024// 000000002AB4: E05C1400 8084241A
	v_mfma_f32_16x16x32_fp8_fp8 v[116:119], a[12:13], v[84:85], v[116:119]// 000000002ABC: D3F30074 0DD2A90C
	v_mfma_f32_16x16x32_fp8_fp8 v[116:119], a[14:15], v[86:87], v[116:119]// 000000002AC4: D3F30074 0DD2AD0E
	v_mfma_f32_16x16x32_fp8_fp8 v[120:123], a[16:17], v[80:81], 0// 000000002ACC: D3F30078 0A02A110
	v_mfma_f32_16x16x32_fp8_fp8 v[120:123], a[18:19], v[82:83], v[120:123]// 000000002AD4: D3F30078 0DE2A512
	buffer_load_dwordx4 a[40:43], v27, s[16:19], 0 offen       // 000000002ADC: E05C1000 8084281B
	v_mfma_f32_16x16x32_fp8_fp8 v[120:123], a[20:21], v[84:85], v[120:123]// 000000002AE4: D3F30078 0DE2A914
	v_mfma_f32_16x16x32_fp8_fp8 v[120:123], a[22:23], v[86:87], v[120:123]// 000000002AEC: D3F30078 0DE2AD16
	v_mfma_f32_16x16x32_fp8_fp8 v[124:127], a[24:25], v[80:81], 0// 000000002AF4: D3F3007C 0A02A118
	v_mfma_f32_16x16x32_fp8_fp8 v[124:127], a[26:27], v[82:83], v[124:127]// 000000002AFC: D3F3007C 0DF2A51A
	buffer_load_dwordx4 a[44:47], v27, s[16:19], 0 offen offset:1024// 000000002B04: E05C1400 80842C1B
	v_mfma_f32_16x16x32_fp8_fp8 v[124:127], a[28:29], v[84:85], v[124:127]// 000000002B0C: D3F3007C 0DF2A91C
	v_mfma_f32_16x16x32_fp8_fp8 v[124:127], a[30:31], v[86:87], v[124:127]// 000000002B14: D3F3007C 0DF2AD1E
	buffer_load_dword v43, v3, s[32:35], 0 offen               // 000000002B1C: E0501000 80082B03
	v_mov_b32_dpp v64, v42 row_shr:4 row_mask:0xf bank_mask:0xf// 000000002B24: 7E8002FA FF01142A
	v_mov_b32_dpp v65, v42 row_shl:4 row_mask:0xf bank_mask:0xf// 000000002B2C: 7E8202FA FF01042A
	v_cndmask_b32_e64 v248, v42, v64, s[44:45]                 // 000000002B34: D10000F8 00B2812A
	v_cndmask_b32_e64 v249, v65, v42, s[44:45]                 // 000000002B3C: D10000F9 00B25541
	v_mov_b32_dpp v64, v248 row_shr:8 row_mask:0xf bank_mask:0xf// 000000002B44: 7E8002FA FF0118F8
	v_mov_b32_dpp v65, v248 row_shl:8 row_mask:0xf bank_mask:0xf// 000000002B4C: 7E8202FA FF0108F8
	v_mov_b32_dpp v66, v249 row_shr:8 row_mask:0xf bank_mask:0xf// 000000002B54: 7E8402FA FF0118F9
	v_mov_b32_dpp v67, v249 row_shl:8 row_mask:0xf bank_mask:0xf// 000000002B5C: 7E8602FA FF0108F9
	v_mov_b32_e32 v68, v248                                    // 000000002B64: 7E8803F8
	v_mov_b32_e32 v69, v249                                    // 000000002B68: 7E8A03F9
	v_cndmask_b32_e64 v248, v68, v64, s[42:43]                 // 000000002B6C: D10000F8 00AA8144
	v_cndmask_b32_e64 v250, v68, v65, s[78:79]                 // 000000002B74: D10000FA 013A8344
	v_cndmask_b32_e64 v249, v69, v66, s[42:43]                 // 000000002B7C: D10000F9 00AA8545
	v_cndmask_b32_e64 v251, v69, v67, s[78:79]                 // 000000002B84: D10000FB 013A8745
	v_mov_b32_dpp v64, v57 row_shr:4 row_mask:0xf bank_mask:0xf// 000000002B8C: 7E8002FA FF011439
	v_mov_b32_dpp v65, v57 row_shl:4 row_mask:0xf bank_mask:0xf// 000000002B94: 7E8202FA FF010439
	v_cndmask_b32_e64 v252, v57, v64, s[44:45]                 // 000000002B9C: D10000FC 00B28139
	v_cndmask_b32_e64 v253, v65, v57, s[44:45]                 // 000000002BA4: D10000FD 00B27341
	v_mov_b32_dpp v64, v252 row_shr:8 row_mask:0xf bank_mask:0xf// 000000002BAC: 7E8002FA FF0118FC
	v_mov_b32_dpp v65, v252 row_shl:8 row_mask:0xf bank_mask:0xf// 000000002BB4: 7E8202FA FF0108FC
	v_mov_b32_dpp v66, v253 row_shr:8 row_mask:0xf bank_mask:0xf// 000000002BBC: 7E8402FA FF0118FD
	v_mov_b32_dpp v67, v253 row_shl:8 row_mask:0xf bank_mask:0xf// 000000002BC4: 7E8602FA FF0108FD
	v_mov_b32_e32 v68, v252                                    // 000000002BCC: 7E8803FC
	v_mov_b32_e32 v69, v253                                    // 000000002BD0: 7E8A03FD
	v_cndmask_b32_e64 v252, v68, v64, s[42:43]                 // 000000002BD4: D10000FC 00AA8144
	v_cndmask_b32_e64 v254, v68, v65, s[78:79]                 // 000000002BDC: D10000FE 013A8344
	v_cndmask_b32_e64 v253, v69, v66, s[42:43]                 // 000000002BE4: D10000FD 00AA8545
	v_cndmask_b32_e64 v255, v69, v67, s[78:79]                 // 000000002BEC: D10000FF 013A8745
	buffer_load_dword v58, v56, s[36:39], 0 offen              // 000000002BF4: E0501000 80093A38
	v_mul_f32_e32 v112, v18, v112                              // 000000002BFC: 0AE0E112
	v_mul_f32_e32 v113, v18, v113                              // 000000002C00: 0AE2E312
	v_mul_f32_e32 v114, v18, v114                              // 000000002C04: 0AE4E512
	v_mul_f32_e32 v115, v18, v115                              // 000000002C08: 0AE6E712
	v_mul_f32_e32 v116, v18, v116                              // 000000002C0C: 0AE8E912
	v_mul_f32_e32 v117, v18, v117                              // 000000002C10: 0AEAEB12
	v_mul_f32_e32 v118, v18, v118                              // 000000002C14: 0AECED12
	v_mul_f32_e32 v119, v18, v119                              // 000000002C18: 0AEEEF12
	v_mul_f32_e32 v120, v18, v120                              // 000000002C1C: 0AF0F112
	v_mul_f32_e32 v121, v18, v121                              // 000000002C20: 0AF2F312
	v_mul_f32_e32 v122, v18, v122                              // 000000002C24: 0AF4F512
	v_mul_f32_e32 v123, v18, v123                              // 000000002C28: 0AF6F712
	v_mul_f32_e32 v124, v18, v124                              // 000000002C2C: 0AF8F912
	v_mul_f32_e32 v125, v18, v125                              // 000000002C30: 0AFAFB12
	v_mul_f32_e32 v126, v18, v126                              // 000000002C34: 0AFCFD12
	v_mul_f32_e32 v127, v18, v127                              // 000000002C38: 0AFEFF12
	buffer_load_dwordx4 a[48:51], v28, s[16:19], 0 offen       // 000000002C3C: E05C1000 8084301C
	v_mul_f32_dpp v112, v248, v112 quad_perm:[0,0,0,0] row_mask:0xf bank_mask:0xf// 000000002C44: 0AE0E0FA FF0000F8
	v_mul_f32_dpp v113, v248, v113 quad_perm:[1,1,1,1] row_mask:0xf bank_mask:0xf// 000000002C4C: 0AE2E2FA FF0055F8
	v_mul_f32_dpp v114, v248, v114 quad_perm:[2,2,2,2] row_mask:0xf bank_mask:0xf// 000000002C54: 0AE4E4FA FF00AAF8
	v_mul_f32_dpp v115, v248, v115 quad_perm:[3,3,3,3] row_mask:0xf bank_mask:0xf// 000000002C5C: 0AE6E6FA FF00FFF8
	v_mul_f32_dpp v116, v249, v116 quad_perm:[0,0,0,0] row_mask:0xf bank_mask:0xf// 000000002C64: 0AE8E8FA FF0000F9
	v_mul_f32_dpp v117, v249, v117 quad_perm:[1,1,1,1] row_mask:0xf bank_mask:0xf// 000000002C6C: 0AEAEAFA FF0055F9
	v_mul_f32_dpp v118, v249, v118 quad_perm:[2,2,2,2] row_mask:0xf bank_mask:0xf// 000000002C74: 0AECECFA FF00AAF9
	v_mul_f32_dpp v119, v249, v119 quad_perm:[3,3,3,3] row_mask:0xf bank_mask:0xf// 000000002C7C: 0AEEEEFA FF00FFF9
	v_mul_f32_dpp v120, v250, v120 quad_perm:[0,0,0,0] row_mask:0xf bank_mask:0xf// 000000002C84: 0AF0F0FA FF0000FA
	v_mul_f32_dpp v121, v250, v121 quad_perm:[1,1,1,1] row_mask:0xf bank_mask:0xf// 000000002C8C: 0AF2F2FA FF0055FA
	v_mul_f32_dpp v122, v250, v122 quad_perm:[2,2,2,2] row_mask:0xf bank_mask:0xf// 000000002C94: 0AF4F4FA FF00AAFA
	v_mul_f32_dpp v123, v250, v123 quad_perm:[3,3,3,3] row_mask:0xf bank_mask:0xf// 000000002C9C: 0AF6F6FA FF00FFFA
	v_mul_f32_dpp v124, v251, v124 quad_perm:[0,0,0,0] row_mask:0xf bank_mask:0xf// 000000002CA4: 0AF8F8FA FF0000FB
	v_mul_f32_dpp v125, v251, v125 quad_perm:[1,1,1,1] row_mask:0xf bank_mask:0xf// 000000002CAC: 0AFAFAFA FF0055FB
	v_mul_f32_dpp v126, v251, v126 quad_perm:[2,2,2,2] row_mask:0xf bank_mask:0xf// 000000002CB4: 0AFCFCFA FF00AAFB
	v_mul_f32_dpp v127, v251, v127 quad_perm:[3,3,3,3] row_mask:0xf bank_mask:0xf// 000000002CBC: 0AFEFEFA FF00FFFB
	buffer_load_dwordx4 a[52:55], v28, s[16:19], 0 offen offset:1024// 000000002CC4: E05C1400 8084341C
	v_mov_b32_e32 v48, v112                                    // 000000002CCC: 7E600370
	v_max3_f32 v48, v112, v113, v48                            // 000000002CD0: D1D30030 04C2E370
	v_max3_f32 v48, v114, v115, v48                            // 000000002CD8: D1D30030 04C2E772
	v_max3_f32 v48, v116, v117, v48                            // 000000002CE0: D1D30030 04C2EB74
	v_max3_f32 v48, v118, v119, v48                            // 000000002CE8: D1D30030 04C2EF76
	v_max3_f32 v48, v120, v121, v48                            // 000000002CF0: D1D30030 04C2F378
	v_max3_f32 v48, v122, v123, v48                            // 000000002CF8: D1D30030 04C2F77A
	v_max3_f32 v48, v124, v125, v48                            // 000000002D00: D1D30030 04C2FB7C
	v_max3_f32 v48, v126, v127, v48                            // 000000002D08: D1D30030 04C2FF7E
	ds_write_b32 v8, v48 offset:16896                          // 000000002D10: D81A4200 00003008
	buffer_load_dwordx4 a[56:59], v29, s[16:19], 0 offen       // 000000002D18: E05C1000 8084381D
	v_mul_u32_u24_dpp v64, v17, v54 row_newbcast:1 row_mask:0xf bank_mask:0xf// 000000002D20: 10806CFA FF015111
	v_mul_u32_u24_dpp v65, v17, v54 row_newbcast:5 row_mask:0xf bank_mask:0xf// 000000002D28: 10826CFA FF015511
	v_mul_u32_u24_dpp v66, v17, v54 row_newbcast:9 row_mask:0xf bank_mask:0xf// 000000002D30: 10846CFA FF015911
	v_mul_u32_u24_dpp v67, v17, v54 row_newbcast:13 row_mask:0xf bank_mask:0xf// 000000002D38: 10866CFA FF015D11
	v_add_u32_e32 v34, v64, v6                                 // 000000002D40: 68440D40
	v_add_u32_e32 v35, v65, v6                                 // 000000002D44: 68460D41
	v_add_u32_e32 v36, v66, v6                                 // 000000002D48: 68480D42
	v_add_u32_e32 v37, v67, v6                                 // 000000002D4C: 684A0D43
	v_mul_f32_e32 v208, v49, v208                              // 000000002D50: 0BA1A131
	v_mul_f32_e32 v209, v49, v209                              // 000000002D54: 0BA3A331
	v_mul_f32_e32 v210, v49, v210                              // 000000002D58: 0BA5A531
	v_mul_f32_e32 v211, v49, v211                              // 000000002D5C: 0BA7A731
	v_mul_f32_e32 v212, v49, v212                              // 000000002D60: 0BA9A931
	v_mul_f32_e32 v213, v49, v213                              // 000000002D64: 0BABAB31
	v_mul_f32_e32 v214, v49, v214                              // 000000002D68: 0BADAD31
	v_mul_f32_e32 v215, v49, v215                              // 000000002D6C: 0BAFAF31
	s_waitcnt lgkmcnt(0)                                       // 000000002D70: BF8CC07F
	s_barrier                                                  // 000000002D74: BF8A0000
	ds_read_b32 v64, v7 offset:16896                           // 000000002D78: D86C4200 40000007
	ds_read_b32 v65, v7 offset:16960                           // 000000002D80: D86C4240 41000007
	ds_read_b32 v66, v7 offset:17024                           // 000000002D88: D86C4280 42000007
	ds_read_b32 v67, v7 offset:17088                           // 000000002D90: D86C42C0 43000007
	ds_read_b32 v68, v7 offset:17152                           // 000000002D98: D86C4300 44000007
	ds_read_b32 v69, v7 offset:17216                           // 000000002DA0: D86C4340 45000007
	ds_read_b32 v70, v7 offset:17280                           // 000000002DA8: D86C4380 46000007
	ds_read_b32 v71, v7 offset:17344                           // 000000002DB0: D86C43C0 47000007
	ds_read_b32 v72, v7 offset:17408                           // 000000002DB8: D86C4400 48000007
	ds_read_b32 v73, v7 offset:17472                           // 000000002DC0: D86C4440 49000007
	ds_read_b32 v74, v7 offset:17536                           // 000000002DC8: D86C4480 4A000007
	ds_read_b32 v75, v7 offset:17600                           // 000000002DD0: D86C44C0 4B000007
	ds_read_b32 v76, v7 offset:17664                           // 000000002DD8: D86C4500 4C000007
	ds_read_b32 v77, v7 offset:17728                           // 000000002DE0: D86C4540 4D000007
	ds_read_b32 v78, v7 offset:17792                           // 000000002DE8: D86C4580 4E000007
	ds_read_b32 v79, v7 offset:17856                           // 000000002DF0: D86C45C0 4F000007
	buffer_load_dwordx4 a[60:63], v29, s[16:19], 0 offen offset:1024// 000000002DF8: E05C1400 80843C1D
	v_mul_f32_e32 v176, v44, v176                              // 000000002E00: 0B61612C
	v_mul_f32_e32 v177, v44, v177                              // 000000002E04: 0B63632C
	v_mul_f32_e32 v178, v44, v178                              // 000000002E08: 0B65652C
	v_mul_f32_e32 v179, v44, v179                              // 000000002E0C: 0B67672C
	v_mul_f32_e32 v180, v44, v180                              // 000000002E10: 0B69692C
	v_mul_f32_e32 v181, v44, v181                              // 000000002E14: 0B6B6B2C
	v_mul_f32_e32 v182, v44, v182                              // 000000002E18: 0B6D6D2C
	v_mul_f32_e32 v183, v44, v183                              // 000000002E1C: 0B6F6F2C
	s_waitcnt lgkmcnt(0)                                       // 000000002E20: BF8CC07F
	v_max3_f32 v48, v64, v65, v48                              // 000000002E24: D1D30030 04C28340
	v_max3_f32 v48, v66, v67, v48                              // 000000002E2C: D1D30030 04C28742
	v_max3_f32 v48, v68, v69, v48                              // 000000002E34: D1D30030 04C28B44
	v_max3_f32 v48, v70, v71, v48                              // 000000002E3C: D1D30030 04C28F46
	v_max3_f32 v48, v72, v73, v48                              // 000000002E44: D1D30030 04C29348
	v_max3_f32 v48, v74, v75, v48                              // 000000002E4C: D1D30030 04C2974A
	v_max3_f32 v48, v76, v77, v48                              // 000000002E54: D1D30030 04C29B4C
	v_max3_f32 v48, v78, v79, v48                              // 000000002E5C: D1D30030 04C29F4E
	buffer_load_dwordx4 a[96:99], v34, s[20:23], 0 offen       // 000000002E64: E05C1000 80856022
	v_mov_b32_e32 v64, 0xff800000                              // 000000002E6C: 7E8002FF FF800000
	v_cmp_eq_u32_e64 s[40:41], v64, v11                        // 000000002E74: D0CA0028 00021740
	s_nop 1                                                    // 000000002E7C: BF800001
	v_max_f32_e32 v15, v48, v11                                // 000000002E80: 161E1730
	v_mul_f32_e32 v53, s64, v15                                // 000000002E84: 0A6A1E40
	v_fma_f32 v112, v112, s64, -v53                            // 000000002E88: D1CB0070 84D48170
	v_fma_f32 v113, v113, s64, -v53                            // 000000002E90: D1CB0071 84D48171
	v_fma_f32 v114, v114, s64, -v53                            // 000000002E98: D1CB0072 84D48172
	v_fma_f32 v115, v115, s64, -v53                            // 000000002EA0: D1CB0073 84D48173
	v_fma_f32 v116, v116, s64, -v53                            // 000000002EA8: D1CB0074 84D48174
	v_fma_f32 v117, v117, s64, -v53                            // 000000002EB0: D1CB0075 84D48175
	v_fma_f32 v118, v118, s64, -v53                            // 000000002EB8: D1CB0076 84D48176
	v_fma_f32 v119, v119, s64, -v53                            // 000000002EC0: D1CB0077 84D48177
	v_fma_f32 v120, v120, s64, -v53                            // 000000002EC8: D1CB0078 84D48178
	v_fma_f32 v121, v121, s64, -v53                            // 000000002ED0: D1CB0079 84D48179
	v_fma_f32 v122, v122, s64, -v53                            // 000000002ED8: D1CB007A 84D4817A
	v_fma_f32 v123, v123, s64, -v53                            // 000000002EE0: D1CB007B 84D4817B
	v_fma_f32 v124, v124, s64, -v53                            // 000000002EE8: D1CB007C 84D4817C
	v_fma_f32 v125, v125, s64, -v53                            // 000000002EF0: D1CB007D 84D4817D
	v_fma_f32 v126, v126, s64, -v53                            // 000000002EF8: D1CB007E 84D4817E
	v_fma_f32 v127, v127, s64, -v53                            // 000000002F00: D1CB007F 84D4817F
	buffer_load_dwordx4 a[100:103], v35, s[20:23], 0 offen     // 000000002F08: E05C1000 80856423
	v_exp_f32_e32 v112, v112                                   // 000000002F10: 7EE04170
	v_exp_f32_e32 v113, v113                                   // 000000002F14: 7EE24171
	v_exp_f32_e32 v114, v114                                   // 000000002F18: 7EE44172
	v_exp_f32_e32 v115, v115                                   // 000000002F1C: 7EE64173
	v_exp_f32_e32 v116, v116                                   // 000000002F20: 7EE84174
	v_exp_f32_e32 v117, v117                                   // 000000002F24: 7EEA4175
	v_exp_f32_e32 v118, v118                                   // 000000002F28: 7EEC4176
	v_exp_f32_e32 v119, v119                                   // 000000002F2C: 7EEE4177
	v_exp_f32_e32 v120, v120                                   // 000000002F30: 7EF04178
	v_exp_f32_e32 v121, v121                                   // 000000002F34: 7EF24179
	v_exp_f32_e32 v122, v122                                   // 000000002F38: 7EF4417A
	v_exp_f32_e32 v123, v123                                   // 000000002F3C: 7EF6417B
	v_exp_f32_e32 v124, v124                                   // 000000002F40: 7EF8417C
	v_exp_f32_e32 v125, v125                                   // 000000002F44: 7EFA417D
	v_exp_f32_e32 v126, v126                                   // 000000002F48: 7EFC417E
	v_exp_f32_e32 v127, v127                                   // 000000002F4C: 7EFE417F
	buffer_load_dwordx4 a[104:107], v36, s[20:23], 0 offen     // 000000002F50: E05C1000 80856824
	v_mul_f32_dpp v240, v252, v112 quad_perm:[0,0,0,0] row_mask:0xf bank_mask:0xf// 000000002F58: 0BE0E0FA FF0000FC
	v_mul_f32_dpp v241, v252, v113 quad_perm:[1,1,1,1] row_mask:0xf bank_mask:0xf// 000000002F60: 0BE2E2FA FF0055FC
	v_mul_f32_dpp v242, v252, v114 quad_perm:[2,2,2,2] row_mask:0xf bank_mask:0xf// 000000002F68: 0BE4E4FA FF00AAFC
	v_mul_f32_dpp v243, v252, v115 quad_perm:[3,3,3,3] row_mask:0xf bank_mask:0xf// 000000002F70: 0BE6E6FA FF00FFFC
	v_mul_f32_dpp v244, v253, v116 quad_perm:[0,0,0,0] row_mask:0xf bank_mask:0xf// 000000002F78: 0BE8E8FA FF0000FD
	v_mul_f32_dpp v245, v253, v117 quad_perm:[1,1,1,1] row_mask:0xf bank_mask:0xf// 000000002F80: 0BEAEAFA FF0055FD
	v_mul_f32_dpp v246, v253, v118 quad_perm:[2,2,2,2] row_mask:0xf bank_mask:0xf// 000000002F88: 0BECECFA FF00AAFD
	v_mul_f32_dpp v247, v253, v119 quad_perm:[3,3,3,3] row_mask:0xf bank_mask:0xf// 000000002F90: 0BEEEEFA FF00FFFD
	v_mul_f32_dpp v248, v254, v120 quad_perm:[0,0,0,0] row_mask:0xf bank_mask:0xf// 000000002F98: 0BF0F0FA FF0000FE
	v_mul_f32_dpp v249, v254, v121 quad_perm:[1,1,1,1] row_mask:0xf bank_mask:0xf// 000000002FA0: 0BF2F2FA FF0055FE
	v_mul_f32_dpp v250, v254, v122 quad_perm:[2,2,2,2] row_mask:0xf bank_mask:0xf// 000000002FA8: 0BF4F4FA FF00AAFE
	v_mul_f32_dpp v251, v254, v123 quad_perm:[3,3,3,3] row_mask:0xf bank_mask:0xf// 000000002FB0: 0BF6F6FA FF00FFFE
	v_mul_f32_dpp v252, v255, v124 quad_perm:[0,0,0,0] row_mask:0xf bank_mask:0xf// 000000002FB8: 0BF8F8FA FF0000FF
	v_mul_f32_dpp v253, v255, v125 quad_perm:[1,1,1,1] row_mask:0xf bank_mask:0xf// 000000002FC0: 0BFAFAFA FF0055FF
	v_mul_f32_dpp v254, v255, v126 quad_perm:[2,2,2,2] row_mask:0xf bank_mask:0xf// 000000002FC8: 0BFCFCFA FF00AAFF
	v_mul_f32_dpp v255, v255, v127 quad_perm:[3,3,3,3] row_mask:0xf bank_mask:0xf// 000000002FD0: 0BFEFEFA FF00FFFF
	v_mov_b32_e32 v48, 0x358637bd                              // 000000002FD8: 7E6002FF 358637BD
	v_max3_f32 v48, |v240|, |v241|, v48                        // 000000002FE0: D1D30330 04C3E3F0
	v_max3_f32 v48, |v242|, |v243|, v48                        // 000000002FE8: D1D30330 04C3E7F2
	v_max3_f32 v48, |v244|, |v245|, v48                        // 000000002FF0: D1D30330 04C3EBF4
	v_max3_f32 v48, |v246|, |v247|, v48                        // 000000002FF8: D1D30330 04C3EFF6
	v_max3_f32 v48, |v248|, |v249|, v48                        // 000000003000: D1D30330 04C3F3F8
	v_max3_f32 v48, |v250|, |v251|, v48                        // 000000003008: D1D30330 04C3F7FA
	v_max3_f32 v48, |v252|, |v253|, v48                        // 000000003010: D1D30330 04C3FBFC
	v_max3_f32 v48, |v254|, |v255|, v48                        // 000000003018: D1D30330 04C3FFFE
	buffer_load_dwordx4 a[108:111], v37, s[20:23], 0 offen     // 000000003020: E05C1000 80856C25
	ds_write_b32 v8, v48 offset:20992                          // 000000003028: D81A5200 00003008
	v_sub_f32_e32 v49, v11, v15                                // 000000003030: 04621F0B
	v_cndmask_b32_e64 v49, v49, 0, s[40:41]                    // 000000003034: D1000031 00A10131
	v_mov_b32_e32 v11, v15                                     // 00000000303C: 7E16030F
	v_mul_f32_e32 v49, s64, v49                                // 000000003040: 0A626240
	v_exp_f32_e32 v49, v49                                     // 000000003044: 7E624131
	s_waitcnt lgkmcnt(0)                                       // 000000003048: BF8CC07F
	s_barrier                                                  // 00000000304C: BF8A0000
	ds_read_b32 v64, v7 offset:20992                           // 000000003050: D86C5200 40000007
	ds_read_b32 v65, v7 offset:21056                           // 000000003058: D86C5240 41000007
	ds_read_b32 v66, v7 offset:21120                           // 000000003060: D86C5280 42000007
	ds_read_b32 v67, v7 offset:21184                           // 000000003068: D86C52C0 43000007
	ds_read_b32 v68, v7 offset:21248                           // 000000003070: D86C5300 44000007
	ds_read_b32 v69, v7 offset:21312                           // 000000003078: D86C5340 45000007
	ds_read_b32 v70, v7 offset:21376                           // 000000003080: D86C5380 46000007
	ds_read_b32 v71, v7 offset:21440                           // 000000003088: D86C53C0 47000007
	ds_read_b32 v72, v7 offset:21504                           // 000000003090: D86C5400 48000007
	ds_read_b32 v73, v7 offset:21568                           // 000000003098: D86C5440 49000007
	ds_read_b32 v74, v7 offset:21632                           // 0000000030A0: D86C5480 4A000007
	ds_read_b32 v75, v7 offset:21696                           // 0000000030A8: D86C54C0 4B000007
	ds_read_b32 v76, v7 offset:21760                           // 0000000030B0: D86C5500 4C000007
	ds_read_b32 v77, v7 offset:21824                           // 0000000030B8: D86C5540 4D000007
	ds_read_b32 v78, v7 offset:21888                           // 0000000030C0: D86C5580 4E000007
	ds_read_b32 v79, v7 offset:21952                           // 0000000030C8: D86C55C0 4F000007
	v_mul_f32_e32 v38, v49, v38                                // 0000000030D0: 0A4C4D31
	v_mov_b32_e32 v15, v112                                    // 0000000030D4: 7E1E0370
	v_add_f32_e32 v15, v113, v15                               // 0000000030D8: 021E1F71
	v_add_f32_e32 v15, v114, v15                               // 0000000030DC: 021E1F72
	v_add_f32_e32 v15, v115, v15                               // 0000000030E0: 021E1F73
	v_add_f32_e32 v15, v116, v15                               // 0000000030E4: 021E1F74
	v_add_f32_e32 v15, v117, v15                               // 0000000030E8: 021E1F75
	v_add_f32_e32 v15, v118, v15                               // 0000000030EC: 021E1F76
	v_add_f32_e32 v15, v119, v15                               // 0000000030F0: 021E1F77
	v_add_f32_e32 v15, v120, v15                               // 0000000030F4: 021E1F78
	v_add_f32_e32 v15, v121, v15                               // 0000000030F8: 021E1F79
	v_add_f32_e32 v15, v122, v15                               // 0000000030FC: 021E1F7A
	v_add_f32_e32 v15, v123, v15                               // 000000003100: 021E1F7B
	v_add_f32_e32 v15, v124, v15                               // 000000003104: 021E1F7C
	v_add_f32_e32 v15, v125, v15                               // 000000003108: 021E1F7D
	v_add_f32_e32 v15, v126, v15                               // 00000000310C: 021E1F7E
	v_add_f32_e32 v15, v127, v15                               // 000000003110: 021E1F7F
	v_add_f32_e32 v38, v15, v38                                // 000000003114: 024C4D0F
	s_waitcnt lgkmcnt(0)                                       // 000000003118: BF8CC07F
	v_max3_f32 v48, |v64|, |v65|, v48                          // 00000000311C: D1D30330 04C28340
	v_max3_f32 v48, |v66|, |v67|, v48                          // 000000003124: D1D30330 04C28742
	v_max3_f32 v48, |v68|, |v69|, v48                          // 00000000312C: D1D30330 04C28B44
	v_max3_f32 v48, |v70|, |v71|, v48                          // 000000003134: D1D30330 04C28F46
	v_max3_f32 v48, |v72|, |v73|, v48                          // 00000000313C: D1D30330 04C29348
	v_max3_f32 v48, |v74|, |v75|, v48                          // 000000003144: D1D30330 04C2974A
	v_max3_f32 v48, |v76|, |v77|, v48                          // 00000000314C: D1D30330 04C29B4C
	v_max3_f32 v48, |v78|, |v79|, v48                          // 000000003154: D1D30330 04C29F4E
	s_nop 2                                                    // 00000000315C: BF800002
	v_rcp_f32_e32 v48, v48                                     // 000000003160: 7E604530
	s_nop 1                                                    // 000000003164: BF800001
	v_mul_f32_e32 v48, 0x43e00000, v48                         // 000000003168: 0A6060FF 43E00000
	v_mul_f32_e32 v112, v48, v240                              // 000000003170: 0AE1E130
	v_mul_f32_e32 v113, v48, v241                              // 000000003174: 0AE3E330
	v_mul_f32_e32 v114, v48, v242                              // 000000003178: 0AE5E530
	v_mul_f32_e32 v115, v48, v243                              // 00000000317C: 0AE7E730
	v_mul_f32_e32 v116, v48, v244                              // 000000003180: 0AE9E930
	v_mul_f32_e32 v117, v48, v245                              // 000000003184: 0AEBEB30
	v_mul_f32_e32 v118, v48, v246                              // 000000003188: 0AEDED30
	v_mul_f32_e32 v119, v48, v247                              // 00000000318C: 0AEFEF30
	v_mul_f32_e32 v120, v48, v248                              // 000000003190: 0AF1F130
	v_mul_f32_e32 v121, v48, v249                              // 000000003194: 0AF3F330
	v_mul_f32_e32 v122, v48, v250                              // 000000003198: 0AF5F530
	v_mul_f32_e32 v123, v48, v251                              // 00000000319C: 0AF7F730
	v_mul_f32_e32 v124, v48, v252                              // 0000000031A0: 0AF9F930
	v_mul_f32_e32 v125, v48, v253                              // 0000000031A4: 0AFBFB30
	v_mul_f32_e32 v126, v48, v254                              // 0000000031A8: 0AFDFD30
	v_mul_f32_e32 v127, v48, v255                              // 0000000031AC: 0AFFFF30
	v_cvt_pk_fp8_f32 v112, v112, v113                          // 0000000031B0: D2A20070 0002E370
	v_cvt_pk_fp8_f32 v112, v114, v115 op_sel:[0,0,1]           // 0000000031B8: D2A24070 0002E772
	v_cvt_pk_fp8_f32 v113, v116, v117                          // 0000000031C0: D2A20071 0002EB74
	v_cvt_pk_fp8_f32 v113, v118, v119 op_sel:[0,0,1]           // 0000000031C8: D2A24071 0002EF76
	v_cvt_pk_fp8_f32 v114, v120, v121                          // 0000000031D0: D2A20072 0002F378
	v_cvt_pk_fp8_f32 v114, v122, v123 op_sel:[0,0,1]           // 0000000031D8: D2A24072 0002F77A
	v_cvt_pk_fp8_f32 v115, v124, v125                          // 0000000031E0: D2A20073 0002FB7C
	v_cvt_pk_fp8_f32 v115, v126, v127 op_sel:[0,0,1]           // 0000000031E8: D2A24073 0002FF7E
	ds_write_b32 v10, v112 offset:25088                        // 0000000031F0: D81A6200 0000700A
	ds_write_b32 v10, v113 offset:26112                        // 0000000031F8: D81A6600 0000710A
	ds_write_b32 v10, v114 offset:27136                        // 000000003200: D81A6A00 0000720A
	ds_write_b32 v10, v115 offset:28160                        // 000000003208: D81A6E00 0000730A
	v_add_f32_e32 v208, v208, v176                             // 000000003210: 03A161D0
	v_add_f32_e32 v209, v209, v177                             // 000000003214: 03A363D1
	v_add_f32_e32 v210, v210, v178                             // 000000003218: 03A565D2
	v_add_f32_e32 v211, v211, v179                             // 00000000321C: 03A767D3
	v_add_f32_e32 v212, v212, v180                             // 000000003220: 03A969D4
	v_add_f32_e32 v213, v213, v181                             // 000000003224: 03AB6BD5
	v_add_f32_e32 v214, v214, v182                             // 000000003228: 03AD6DD6
	v_add_f32_e32 v215, v215, v183                             // 00000000322C: 03AF6FD7
	v_rcp_f32_e32 v44, v48                                     // 000000003230: 7E584530
	s_waitcnt lgkmcnt(0)                                       // 000000003234: BF8CC07F
	s_barrier                                                  // 000000003238: BF8A0000
	ds_read_b64 v[112:113], v9 offset:25088                    // 00000000323C: D8EC6200 70000009
	ds_read_b64 v[114:115], v9 offset:25216                    // 000000003244: D8EC6280 72000009
	ds_read_b64 v[116:117], v9 offset:26112                    // 00000000324C: D8EC6600 74000009
	ds_read_b64 v[118:119], v9 offset:26240                    // 000000003254: D8EC6680 76000009
	ds_read_b64 v[120:121], v9 offset:27136                    // 00000000325C: D8EC6A00 78000009
	ds_read_b64 v[122:123], v9 offset:27264                    // 000000003264: D8EC6A80 7A000009
	ds_read_b64 v[124:125], v9 offset:28160                    // 00000000326C: D8EC6E00 7C000009
	ds_read_b64 v[126:127], v9 offset:28288                    // 000000003274: D8EC6E80 7E000009
	s_waitcnt vmcnt(15)                                        // 00000000327C: BF8C0F7F
	s_waitcnt lgkmcnt(7)                                       // 000000003280: BF8CC77F
	v_mfma_f32_16x16x32_fp8_fp8 v[176:179], a[64:65], v[112:113], 0// 000000003284: D3F300B0 0A02E140
	s_waitcnt lgkmcnt(6)                                       // 00000000328C: BF8CC67F
	v_mfma_f32_16x16x32_fp8_fp8 v[176:179], a[66:67], v[114:115], v[176:179]// 000000003290: D3F300B0 0EC2E542
	buffer_load_dwordx4 a[112:115], v34, s[20:23], 0 offen offset:1024// 000000003298: E05C1400 80857022
	s_waitcnt lgkmcnt(5)                                       // 0000000032A0: BF8CC57F
	v_mfma_f32_16x16x32_fp8_fp8 v[176:179], a[68:69], v[116:117], v[176:179]// 0000000032A4: D3F300B0 0EC2E944
	s_waitcnt lgkmcnt(4)                                       // 0000000032AC: BF8CC47F
	v_mfma_f32_16x16x32_fp8_fp8 v[176:179], a[70:71], v[118:119], v[176:179]// 0000000032B0: D3F300B0 0EC2ED46
	s_waitcnt lgkmcnt(3)                                       // 0000000032B8: BF8CC37F
	v_mfma_f32_16x16x32_fp8_fp8 v[176:179], a[72:73], v[120:121], v[176:179]// 0000000032BC: D3F300B0 0EC2F148
	s_waitcnt lgkmcnt(2)                                       // 0000000032C4: BF8CC27F
	v_mfma_f32_16x16x32_fp8_fp8 v[176:179], a[74:75], v[122:123], v[176:179]// 0000000032C8: D3F300B0 0EC2F54A
	buffer_load_dwordx4 a[116:119], v35, s[20:23], 0 offen offset:1024// 0000000032D0: E05C1400 80857423
	s_waitcnt lgkmcnt(1)                                       // 0000000032D8: BF8CC17F
	v_mfma_f32_16x16x32_fp8_fp8 v[176:179], a[76:77], v[124:125], v[176:179]// 0000000032DC: D3F300B0 0EC2F94C
	s_waitcnt lgkmcnt(0)                                       // 0000000032E4: BF8CC07F
	v_mfma_f32_16x16x32_fp8_fp8 v[176:179], a[78:79], v[126:127], v[176:179]// 0000000032E8: D3F300B0 0EC2FD4E
	v_mfma_f32_16x16x32_fp8_fp8 v[180:183], a[80:81], v[112:113], 0// 0000000032F0: D3F300B4 0A02E150
	v_mfma_f32_16x16x32_fp8_fp8 v[180:183], a[82:83], v[114:115], v[180:183]// 0000000032F8: D3F300B4 0ED2E552
	buffer_load_dwordx4 a[120:123], v36, s[20:23], 0 offen offset:1024// 000000003300: E05C1400 80857824
	v_mfma_f32_16x16x32_fp8_fp8 v[180:183], a[84:85], v[116:117], v[180:183]// 000000003308: D3F300B4 0ED2E954
	v_mfma_f32_16x16x32_fp8_fp8 v[180:183], a[86:87], v[118:119], v[180:183]// 000000003310: D3F300B4 0ED2ED56
	v_mfma_f32_16x16x32_fp8_fp8 v[180:183], a[88:89], v[120:121], v[180:183]// 000000003318: D3F300B4 0ED2F158
	v_mfma_f32_16x16x32_fp8_fp8 v[180:183], a[90:91], v[122:123], v[180:183]// 000000003320: D3F300B4 0ED2F55A
	buffer_load_dwordx4 a[124:127], v37, s[20:23], 0 offen offset:1024// 000000003328: E05C1400 80857C25
	v_mfma_f32_16x16x32_fp8_fp8 v[180:183], a[92:93], v[124:125], v[180:183]// 000000003330: D3F300B4 0ED2F95C
	s_lshr_b32 s57, s70, 4                                     // 000000003338: 8F398446
	s_add_u32 s57, 48, s57                                     // 00000000333C: 803939B0
	v_mfma_f32_16x16x32_fp8_fp8 v[180:183], a[94:95], v[126:127], v[180:183]// 000000003340: D3F300B4 0ED2FD5E
	s_cmp_ge_u32 s57, s73                                      // 000000003348: BF094939
	s_cselect_b32 s56, 0, s56                                  // 00000000334C: 85383880
	v_add_u32_e32 v1, s56, v1                                  // 000000003350: 68020238
	s_addk_i32 s70, 0x100                                      // 000000003354: B7460100
	s_cmp_lt_i32 s70, s71                                      // 000000003358: BF044746
	s_cbranch_scc0 label_06A7                                  // 00000000335C: BF84024F
	s_waitcnt vmcnt(8) lgkmcnt(0)                              // 000000003360: BF8C0078
	v_mul_u32_u24_dpp v64, v16, v54 row_newbcast:0 row_mask:0xf bank_mask:0xf// 000000003364: 10806CFA FF015010
	v_mul_u32_u24_dpp v65, v16, v54 row_newbcast:4 row_mask:0xf bank_mask:0xf// 00000000336C: 10826CFA FF015410
	v_mul_u32_u24_dpp v66, v16, v54 row_newbcast:8 row_mask:0xf bank_mask:0xf// 000000003374: 10846CFA FF015810
	v_mul_u32_u24_dpp v67, v16, v54 row_newbcast:12 row_mask:0xf bank_mask:0xf// 00000000337C: 10866CFA FF015C10
	v_add_u32_e32 v22, v64, v5                                 // 000000003384: 682C0B40
	v_add_u32_e32 v23, v65, v5                                 // 000000003388: 682E0B41
	v_add_u32_e32 v24, v66, v5                                 // 00000000338C: 68300B42
	v_add_u32_e32 v25, v67, v5                                 // 000000003390: 68320B43
	v_mul_u32_u24_dpp v64, v16, v63 quad_perm:[0,0,0,0] row_mask:0xf bank_mask:0xf// 000000003394: 10807EFA FF000010
	v_add_u32_e32 v2, v64, v59                                 // 00000000339C: 68047740
	v_mul_u32_u24_dpp v64, v16, v63 quad_perm:[0,0,0,0] row_mask:0xf bank_mask:0xf// 0000000033A0: 10807EFA FF000010
	v_add_u32_e32 v55, v64, v60                                // 0000000033A8: 686E7940
	v_mfma_f32_16x16x32_fp8_fp8 v[112:115], a[32:33], v[80:81], 0// 0000000033AC: D3F30070 0A02A120
	v_mfma_f32_16x16x32_fp8_fp8 v[112:115], a[34:35], v[82:83], v[112:115]// 0000000033B4: D3F30070 0DC2A522
	buffer_load_dwordx4 a[0:3], v22, s[16:19], 0 offen         // 0000000033BC: E05C1000 80840016
	v_mfma_f32_16x16x32_fp8_fp8 v[112:115], a[36:37], v[84:85], v[112:115]// 0000000033C4: D3F30070 0DC2A924
	v_mfma_f32_16x16x32_fp8_fp8 v[112:115], a[38:39], v[86:87], v[112:115]// 0000000033CC: D3F30070 0DC2AD26
	buffer_load_dword v17, v1, s[24:27], 0 offen               // 0000000033D4: E0501000 80061101
	v_mfma_f32_16x16x32_fp8_fp8 v[116:119], a[40:41], v[80:81], 0// 0000000033DC: D3F30074 0A02A128
	v_mfma_f32_16x16x32_fp8_fp8 v[116:119], a[42:43], v[82:83], v[116:119]// 0000000033E4: D3F30074 0DD2A52A
	buffer_load_dwordx4 a[4:7], v22, s[16:19], 0 offen offset:1024// 0000000033EC: E05C1400 80840416
	v_mfma_f32_16x16x32_fp8_fp8 v[116:119], a[44:45], v[84:85], v[116:119]// 0000000033F4: D3F30074 0DD2A92C
	v_mfma_f32_16x16x32_fp8_fp8 v[116:119], a[46:47], v[86:87], v[116:119]// 0000000033FC: D3F30074 0DD2AD2E
	v_mfma_f32_16x16x32_fp8_fp8 v[120:123], a[48:49], v[80:81], 0// 000000003404: D3F30078 0A02A130
	v_mfma_f32_16x16x32_fp8_fp8 v[120:123], a[50:51], v[82:83], v[120:123]// 00000000340C: D3F30078 0DE2A532
	buffer_load_dwordx4 a[8:11], v23, s[16:19], 0 offen        // 000000003414: E05C1000 80840817
	v_mfma_f32_16x16x32_fp8_fp8 v[120:123], a[52:53], v[84:85], v[120:123]// 00000000341C: D3F30078 0DE2A934
	v_mfma_f32_16x16x32_fp8_fp8 v[120:123], a[54:55], v[86:87], v[120:123]// 000000003424: D3F30078 0DE2AD36
	v_mfma_f32_16x16x32_fp8_fp8 v[124:127], a[56:57], v[80:81], 0// 00000000342C: D3F3007C 0A02A138
	v_mfma_f32_16x16x32_fp8_fp8 v[124:127], a[58:59], v[82:83], v[124:127]// 000000003434: D3F3007C 0DF2A53A
	buffer_load_dwordx4 a[12:15], v23, s[16:19], 0 offen offset:1024// 00000000343C: E05C1400 80840C17
	v_mfma_f32_16x16x32_fp8_fp8 v[124:127], a[60:61], v[84:85], v[124:127]// 000000003444: D3F3007C 0DF2A93C
	v_mfma_f32_16x16x32_fp8_fp8 v[124:127], a[62:63], v[86:87], v[124:127]// 00000000344C: D3F3007C 0DF2AD3E
	buffer_load_dword v42, v2, s[32:35], 0 offen               // 000000003454: E0501000 80082A02
	v_mov_b32_dpp v64, v43 row_shr:4 row_mask:0xf bank_mask:0xf// 00000000345C: 7E8002FA FF01142B
	v_mov_b32_dpp v65, v43 row_shl:4 row_mask:0xf bank_mask:0xf// 000000003464: 7E8202FA FF01042B
	v_cndmask_b32_e64 v248, v43, v64, s[44:45]                 // 00000000346C: D10000F8 00B2812B
	v_cndmask_b32_e64 v249, v65, v43, s[44:45]                 // 000000003474: D10000F9 00B25741
	v_mov_b32_dpp v64, v248 row_shr:8 row_mask:0xf bank_mask:0xf// 00000000347C: 7E8002FA FF0118F8
	v_mov_b32_dpp v65, v248 row_shl:8 row_mask:0xf bank_mask:0xf// 000000003484: 7E8202FA FF0108F8
	v_mov_b32_dpp v66, v249 row_shr:8 row_mask:0xf bank_mask:0xf// 00000000348C: 7E8402FA FF0118F9
	v_mov_b32_dpp v67, v249 row_shl:8 row_mask:0xf bank_mask:0xf// 000000003494: 7E8602FA FF0108F9
	v_mov_b32_e32 v68, v248                                    // 00000000349C: 7E8803F8
	v_mov_b32_e32 v69, v249                                    // 0000000034A0: 7E8A03F9
	v_cndmask_b32_e64 v248, v68, v64, s[42:43]                 // 0000000034A4: D10000F8 00AA8144
	v_cndmask_b32_e64 v250, v68, v65, s[78:79]                 // 0000000034AC: D10000FA 013A8344
	v_cndmask_b32_e64 v249, v69, v66, s[42:43]                 // 0000000034B4: D10000F9 00AA8545
	v_cndmask_b32_e64 v251, v69, v67, s[78:79]                 // 0000000034BC: D10000FB 013A8745
	v_mov_b32_dpp v64, v58 row_shr:4 row_mask:0xf bank_mask:0xf// 0000000034C4: 7E8002FA FF01143A
	v_mov_b32_dpp v65, v58 row_shl:4 row_mask:0xf bank_mask:0xf// 0000000034CC: 7E8202FA FF01043A
	v_cndmask_b32_e64 v252, v58, v64, s[44:45]                 // 0000000034D4: D10000FC 00B2813A
	v_cndmask_b32_e64 v253, v65, v58, s[44:45]                 // 0000000034DC: D10000FD 00B27541
	v_mov_b32_dpp v64, v252 row_shr:8 row_mask:0xf bank_mask:0xf// 0000000034E4: 7E8002FA FF0118FC
	v_mov_b32_dpp v65, v252 row_shl:8 row_mask:0xf bank_mask:0xf// 0000000034EC: 7E8202FA FF0108FC
	v_mov_b32_dpp v66, v253 row_shr:8 row_mask:0xf bank_mask:0xf// 0000000034F4: 7E8402FA FF0118FD
	v_mov_b32_dpp v67, v253 row_shl:8 row_mask:0xf bank_mask:0xf// 0000000034FC: 7E8602FA FF0108FD
	v_mov_b32_e32 v68, v252                                    // 000000003504: 7E8803FC
	v_mov_b32_e32 v69, v253                                    // 000000003508: 7E8A03FD
	v_cndmask_b32_e64 v252, v68, v64, s[42:43]                 // 00000000350C: D10000FC 00AA8144
	v_cndmask_b32_e64 v254, v68, v65, s[78:79]                 // 000000003514: D10000FE 013A8344
	v_cndmask_b32_e64 v253, v69, v66, s[42:43]                 // 00000000351C: D10000FD 00AA8545
	v_cndmask_b32_e64 v255, v69, v67, s[78:79]                 // 000000003524: D10000FF 013A8745
	buffer_load_dword v57, v55, s[36:39], 0 offen              // 00000000352C: E0501000 80093937
	v_mul_f32_e32 v112, v18, v112                              // 000000003534: 0AE0E112
	v_mul_f32_e32 v113, v18, v113                              // 000000003538: 0AE2E312
	v_mul_f32_e32 v114, v18, v114                              // 00000000353C: 0AE4E512
	v_mul_f32_e32 v115, v18, v115                              // 000000003540: 0AE6E712
	v_mul_f32_e32 v116, v18, v116                              // 000000003544: 0AE8E912
	v_mul_f32_e32 v117, v18, v117                              // 000000003548: 0AEAEB12
	v_mul_f32_e32 v118, v18, v118                              // 00000000354C: 0AECED12
	v_mul_f32_e32 v119, v18, v119                              // 000000003550: 0AEEEF12
	v_mul_f32_e32 v120, v18, v120                              // 000000003554: 0AF0F112
	v_mul_f32_e32 v121, v18, v121                              // 000000003558: 0AF2F312
	v_mul_f32_e32 v122, v18, v122                              // 00000000355C: 0AF4F512
	v_mul_f32_e32 v123, v18, v123                              // 000000003560: 0AF6F712
	v_mul_f32_e32 v124, v18, v124                              // 000000003564: 0AF8F912
	v_mul_f32_e32 v125, v18, v125                              // 000000003568: 0AFAFB12
	v_mul_f32_e32 v126, v18, v126                              // 00000000356C: 0AFCFD12
	v_mul_f32_e32 v127, v18, v127                              // 000000003570: 0AFEFF12
	buffer_load_dwordx4 a[16:19], v24, s[16:19], 0 offen       // 000000003574: E05C1000 80841018
	v_mul_f32_dpp v112, v248, v112 quad_perm:[0,0,0,0] row_mask:0xf bank_mask:0xf// 00000000357C: 0AE0E0FA FF0000F8
	v_mul_f32_dpp v113, v248, v113 quad_perm:[1,1,1,1] row_mask:0xf bank_mask:0xf// 000000003584: 0AE2E2FA FF0055F8
	v_mul_f32_dpp v114, v248, v114 quad_perm:[2,2,2,2] row_mask:0xf bank_mask:0xf// 00000000358C: 0AE4E4FA FF00AAF8
	v_mul_f32_dpp v115, v248, v115 quad_perm:[3,3,3,3] row_mask:0xf bank_mask:0xf// 000000003594: 0AE6E6FA FF00FFF8
	v_mul_f32_dpp v116, v249, v116 quad_perm:[0,0,0,0] row_mask:0xf bank_mask:0xf// 00000000359C: 0AE8E8FA FF0000F9
	v_mul_f32_dpp v117, v249, v117 quad_perm:[1,1,1,1] row_mask:0xf bank_mask:0xf// 0000000035A4: 0AEAEAFA FF0055F9
	v_mul_f32_dpp v118, v249, v118 quad_perm:[2,2,2,2] row_mask:0xf bank_mask:0xf// 0000000035AC: 0AECECFA FF00AAF9
	v_mul_f32_dpp v119, v249, v119 quad_perm:[3,3,3,3] row_mask:0xf bank_mask:0xf// 0000000035B4: 0AEEEEFA FF00FFF9
	v_mul_f32_dpp v120, v250, v120 quad_perm:[0,0,0,0] row_mask:0xf bank_mask:0xf// 0000000035BC: 0AF0F0FA FF0000FA
	v_mul_f32_dpp v121, v250, v121 quad_perm:[1,1,1,1] row_mask:0xf bank_mask:0xf// 0000000035C4: 0AF2F2FA FF0055FA
	v_mul_f32_dpp v122, v250, v122 quad_perm:[2,2,2,2] row_mask:0xf bank_mask:0xf// 0000000035CC: 0AF4F4FA FF00AAFA
	v_mul_f32_dpp v123, v250, v123 quad_perm:[3,3,3,3] row_mask:0xf bank_mask:0xf// 0000000035D4: 0AF6F6FA FF00FFFA
	v_mul_f32_dpp v124, v251, v124 quad_perm:[0,0,0,0] row_mask:0xf bank_mask:0xf// 0000000035DC: 0AF8F8FA FF0000FB
	v_mul_f32_dpp v125, v251, v125 quad_perm:[1,1,1,1] row_mask:0xf bank_mask:0xf// 0000000035E4: 0AFAFAFA FF0055FB
	v_mul_f32_dpp v126, v251, v126 quad_perm:[2,2,2,2] row_mask:0xf bank_mask:0xf// 0000000035EC: 0AFCFCFA FF00AAFB
	v_mul_f32_dpp v127, v251, v127 quad_perm:[3,3,3,3] row_mask:0xf bank_mask:0xf// 0000000035F4: 0AFEFEFA FF00FFFB
	buffer_load_dwordx4 a[20:23], v24, s[16:19], 0 offen offset:1024// 0000000035FC: E05C1400 80841418
	v_mov_b32_e32 v48, v112                                    // 000000003604: 7E600370
	v_max3_f32 v48, v112, v113, v48                            // 000000003608: D1D30030 04C2E370
	v_max3_f32 v48, v114, v115, v48                            // 000000003610: D1D30030 04C2E772
	v_max3_f32 v48, v116, v117, v48                            // 000000003618: D1D30030 04C2EB74
	v_max3_f32 v48, v118, v119, v48                            // 000000003620: D1D30030 04C2EF76
	v_max3_f32 v48, v120, v121, v48                            // 000000003628: D1D30030 04C2F378
	v_max3_f32 v48, v122, v123, v48                            // 000000003630: D1D30030 04C2F77A
	v_max3_f32 v48, v124, v125, v48                            // 000000003638: D1D30030 04C2FB7C
	v_max3_f32 v48, v126, v127, v48                            // 000000003640: D1D30030 04C2FF7E
	ds_write_b32 v8, v48 offset:16896                          // 000000003648: D81A4200 00003008
	buffer_load_dwordx4 a[24:27], v25, s[16:19], 0 offen       // 000000003650: E05C1000 80841819
	v_mul_u32_u24_dpp v64, v16, v54 row_newbcast:1 row_mask:0xf bank_mask:0xf// 000000003658: 10806CFA FF015110
	v_mul_u32_u24_dpp v65, v16, v54 row_newbcast:5 row_mask:0xf bank_mask:0xf// 000000003660: 10826CFA FF015510
	v_mul_u32_u24_dpp v66, v16, v54 row_newbcast:9 row_mask:0xf bank_mask:0xf// 000000003668: 10846CFA FF015910
	v_mul_u32_u24_dpp v67, v16, v54 row_newbcast:13 row_mask:0xf bank_mask:0xf// 000000003670: 10866CFA FF015D10
	v_add_u32_e32 v30, v64, v6                                 // 000000003678: 683C0D40
	v_add_u32_e32 v31, v65, v6                                 // 00000000367C: 683E0D41
	v_add_u32_e32 v32, v66, v6                                 // 000000003680: 68400D42
	v_add_u32_e32 v33, v67, v6                                 // 000000003684: 68420D43
	v_mul_f32_e32 v208, v49, v208                              // 000000003688: 0BA1A131
	v_mul_f32_e32 v209, v49, v209                              // 00000000368C: 0BA3A331
	v_mul_f32_e32 v210, v49, v210                              // 000000003690: 0BA5A531
	v_mul_f32_e32 v211, v49, v211                              // 000000003694: 0BA7A731
	v_mul_f32_e32 v212, v49, v212                              // 000000003698: 0BA9A931
	v_mul_f32_e32 v213, v49, v213                              // 00000000369C: 0BABAB31
	v_mul_f32_e32 v214, v49, v214                              // 0000000036A0: 0BADAD31
	v_mul_f32_e32 v215, v49, v215                              // 0000000036A4: 0BAFAF31
	s_waitcnt lgkmcnt(0)                                       // 0000000036A8: BF8CC07F
	s_barrier                                                  // 0000000036AC: BF8A0000
	ds_read_b32 v64, v7 offset:16896                           // 0000000036B0: D86C4200 40000007
	ds_read_b32 v65, v7 offset:16960                           // 0000000036B8: D86C4240 41000007
	ds_read_b32 v66, v7 offset:17024                           // 0000000036C0: D86C4280 42000007
	ds_read_b32 v67, v7 offset:17088                           // 0000000036C8: D86C42C0 43000007
	ds_read_b32 v68, v7 offset:17152                           // 0000000036D0: D86C4300 44000007
	ds_read_b32 v69, v7 offset:17216                           // 0000000036D8: D86C4340 45000007
	ds_read_b32 v70, v7 offset:17280                           // 0000000036E0: D86C4380 46000007
	ds_read_b32 v71, v7 offset:17344                           // 0000000036E8: D86C43C0 47000007
	ds_read_b32 v72, v7 offset:17408                           // 0000000036F0: D86C4400 48000007
	ds_read_b32 v73, v7 offset:17472                           // 0000000036F8: D86C4440 49000007
	ds_read_b32 v74, v7 offset:17536                           // 000000003700: D86C4480 4A000007
	ds_read_b32 v75, v7 offset:17600                           // 000000003708: D86C44C0 4B000007
	ds_read_b32 v76, v7 offset:17664                           // 000000003710: D86C4500 4C000007
	ds_read_b32 v77, v7 offset:17728                           // 000000003718: D86C4540 4D000007
	ds_read_b32 v78, v7 offset:17792                           // 000000003720: D86C4580 4E000007
	ds_read_b32 v79, v7 offset:17856                           // 000000003728: D86C45C0 4F000007
	buffer_load_dwordx4 a[28:31], v25, s[16:19], 0 offen offset:1024// 000000003730: E05C1400 80841C19
	v_mul_f32_e32 v176, v44, v176                              // 000000003738: 0B61612C
	v_mul_f32_e32 v177, v44, v177                              // 00000000373C: 0B63632C
	v_mul_f32_e32 v178, v44, v178                              // 000000003740: 0B65652C
	v_mul_f32_e32 v179, v44, v179                              // 000000003744: 0B67672C
	v_mul_f32_e32 v180, v44, v180                              // 000000003748: 0B69692C
	v_mul_f32_e32 v181, v44, v181                              // 00000000374C: 0B6B6B2C
	v_mul_f32_e32 v182, v44, v182                              // 000000003750: 0B6D6D2C
	v_mul_f32_e32 v183, v44, v183                              // 000000003754: 0B6F6F2C
	s_waitcnt lgkmcnt(0)                                       // 000000003758: BF8CC07F
	v_max3_f32 v48, v64, v65, v48                              // 00000000375C: D1D30030 04C28340
	v_max3_f32 v48, v66, v67, v48                              // 000000003764: D1D30030 04C28742
	v_max3_f32 v48, v68, v69, v48                              // 00000000376C: D1D30030 04C28B44
	v_max3_f32 v48, v70, v71, v48                              // 000000003774: D1D30030 04C28F46
	v_max3_f32 v48, v72, v73, v48                              // 00000000377C: D1D30030 04C29348
	v_max3_f32 v48, v74, v75, v48                              // 000000003784: D1D30030 04C2974A
	v_max3_f32 v48, v76, v77, v48                              // 00000000378C: D1D30030 04C29B4C
	v_max3_f32 v48, v78, v79, v48                              // 000000003794: D1D30030 04C29F4E
	buffer_load_dwordx4 a[64:67], v30, s[20:23], 0 offen       // 00000000379C: E05C1000 8085401E
	v_mov_b32_e32 v64, 0xff800000                              // 0000000037A4: 7E8002FF FF800000
	v_cmp_eq_u32_e64 s[40:41], v64, v11                        // 0000000037AC: D0CA0028 00021740
	s_nop 1                                                    // 0000000037B4: BF800001
	v_max_f32_e32 v15, v48, v11                                // 0000000037B8: 161E1730
	v_mul_f32_e32 v53, s64, v15                                // 0000000037BC: 0A6A1E40
	v_fma_f32 v112, v112, s64, -v53                            // 0000000037C0: D1CB0070 84D48170
	v_fma_f32 v113, v113, s64, -v53                            // 0000000037C8: D1CB0071 84D48171
	v_fma_f32 v114, v114, s64, -v53                            // 0000000037D0: D1CB0072 84D48172
	v_fma_f32 v115, v115, s64, -v53                            // 0000000037D8: D1CB0073 84D48173
	v_fma_f32 v116, v116, s64, -v53                            // 0000000037E0: D1CB0074 84D48174
	v_fma_f32 v117, v117, s64, -v53                            // 0000000037E8: D1CB0075 84D48175
	v_fma_f32 v118, v118, s64, -v53                            // 0000000037F0: D1CB0076 84D48176
	v_fma_f32 v119, v119, s64, -v53                            // 0000000037F8: D1CB0077 84D48177
	v_fma_f32 v120, v120, s64, -v53                            // 000000003800: D1CB0078 84D48178
	v_fma_f32 v121, v121, s64, -v53                            // 000000003808: D1CB0079 84D48179
	v_fma_f32 v122, v122, s64, -v53                            // 000000003810: D1CB007A 84D4817A
	v_fma_f32 v123, v123, s64, -v53                            // 000000003818: D1CB007B 84D4817B
	v_fma_f32 v124, v124, s64, -v53                            // 000000003820: D1CB007C 84D4817C
	v_fma_f32 v125, v125, s64, -v53                            // 000000003828: D1CB007D 84D4817D
	v_fma_f32 v126, v126, s64, -v53                            // 000000003830: D1CB007E 84D4817E
	v_fma_f32 v127, v127, s64, -v53                            // 000000003838: D1CB007F 84D4817F
	buffer_load_dwordx4 a[68:71], v31, s[20:23], 0 offen       // 000000003840: E05C1000 8085441F
	v_exp_f32_e32 v112, v112                                   // 000000003848: 7EE04170
	v_exp_f32_e32 v113, v113                                   // 00000000384C: 7EE24171
	v_exp_f32_e32 v114, v114                                   // 000000003850: 7EE44172
	v_exp_f32_e32 v115, v115                                   // 000000003854: 7EE64173
	v_exp_f32_e32 v116, v116                                   // 000000003858: 7EE84174
	v_exp_f32_e32 v117, v117                                   // 00000000385C: 7EEA4175
	v_exp_f32_e32 v118, v118                                   // 000000003860: 7EEC4176
	v_exp_f32_e32 v119, v119                                   // 000000003864: 7EEE4177
	v_exp_f32_e32 v120, v120                                   // 000000003868: 7EF04178
	v_exp_f32_e32 v121, v121                                   // 00000000386C: 7EF24179
	v_exp_f32_e32 v122, v122                                   // 000000003870: 7EF4417A
	v_exp_f32_e32 v123, v123                                   // 000000003874: 7EF6417B
	v_exp_f32_e32 v124, v124                                   // 000000003878: 7EF8417C
	v_exp_f32_e32 v125, v125                                   // 00000000387C: 7EFA417D
	v_exp_f32_e32 v126, v126                                   // 000000003880: 7EFC417E
	v_exp_f32_e32 v127, v127                                   // 000000003884: 7EFE417F
	buffer_load_dwordx4 a[72:75], v32, s[20:23], 0 offen       // 000000003888: E05C1000 80854820
	v_mul_f32_dpp v240, v252, v112 quad_perm:[0,0,0,0] row_mask:0xf bank_mask:0xf// 000000003890: 0BE0E0FA FF0000FC
	v_mul_f32_dpp v241, v252, v113 quad_perm:[1,1,1,1] row_mask:0xf bank_mask:0xf// 000000003898: 0BE2E2FA FF0055FC
	v_mul_f32_dpp v242, v252, v114 quad_perm:[2,2,2,2] row_mask:0xf bank_mask:0xf// 0000000038A0: 0BE4E4FA FF00AAFC
	v_mul_f32_dpp v243, v252, v115 quad_perm:[3,3,3,3] row_mask:0xf bank_mask:0xf// 0000000038A8: 0BE6E6FA FF00FFFC
	v_mul_f32_dpp v244, v253, v116 quad_perm:[0,0,0,0] row_mask:0xf bank_mask:0xf// 0000000038B0: 0BE8E8FA FF0000FD
	v_mul_f32_dpp v245, v253, v117 quad_perm:[1,1,1,1] row_mask:0xf bank_mask:0xf// 0000000038B8: 0BEAEAFA FF0055FD
	v_mul_f32_dpp v246, v253, v118 quad_perm:[2,2,2,2] row_mask:0xf bank_mask:0xf// 0000000038C0: 0BECECFA FF00AAFD
	v_mul_f32_dpp v247, v253, v119 quad_perm:[3,3,3,3] row_mask:0xf bank_mask:0xf// 0000000038C8: 0BEEEEFA FF00FFFD
	v_mul_f32_dpp v248, v254, v120 quad_perm:[0,0,0,0] row_mask:0xf bank_mask:0xf// 0000000038D0: 0BF0F0FA FF0000FE
	v_mul_f32_dpp v249, v254, v121 quad_perm:[1,1,1,1] row_mask:0xf bank_mask:0xf// 0000000038D8: 0BF2F2FA FF0055FE
	v_mul_f32_dpp v250, v254, v122 quad_perm:[2,2,2,2] row_mask:0xf bank_mask:0xf// 0000000038E0: 0BF4F4FA FF00AAFE
	v_mul_f32_dpp v251, v254, v123 quad_perm:[3,3,3,3] row_mask:0xf bank_mask:0xf// 0000000038E8: 0BF6F6FA FF00FFFE
	v_mul_f32_dpp v252, v255, v124 quad_perm:[0,0,0,0] row_mask:0xf bank_mask:0xf// 0000000038F0: 0BF8F8FA FF0000FF
	v_mul_f32_dpp v253, v255, v125 quad_perm:[1,1,1,1] row_mask:0xf bank_mask:0xf// 0000000038F8: 0BFAFAFA FF0055FF
	v_mul_f32_dpp v254, v255, v126 quad_perm:[2,2,2,2] row_mask:0xf bank_mask:0xf// 000000003900: 0BFCFCFA FF00AAFF
	v_mul_f32_dpp v255, v255, v127 quad_perm:[3,3,3,3] row_mask:0xf bank_mask:0xf// 000000003908: 0BFEFEFA FF00FFFF
	v_mov_b32_e32 v48, 0x358637bd                              // 000000003910: 7E6002FF 358637BD
	v_max3_f32 v48, |v240|, |v241|, v48                        // 000000003918: D1D30330 04C3E3F0
	v_max3_f32 v48, |v242|, |v243|, v48                        // 000000003920: D1D30330 04C3E7F2
	v_max3_f32 v48, |v244|, |v245|, v48                        // 000000003928: D1D30330 04C3EBF4
	v_max3_f32 v48, |v246|, |v247|, v48                        // 000000003930: D1D30330 04C3EFF6
	v_max3_f32 v48, |v248|, |v249|, v48                        // 000000003938: D1D30330 04C3F3F8
	v_max3_f32 v48, |v250|, |v251|, v48                        // 000000003940: D1D30330 04C3F7FA
	v_max3_f32 v48, |v252|, |v253|, v48                        // 000000003948: D1D30330 04C3FBFC
	v_max3_f32 v48, |v254|, |v255|, v48                        // 000000003950: D1D30330 04C3FFFE
	buffer_load_dwordx4 a[76:79], v33, s[20:23], 0 offen       // 000000003958: E05C1000 80854C21
	ds_write_b32 v8, v48 offset:20992                          // 000000003960: D81A5200 00003008
	v_sub_f32_e32 v49, v11, v15                                // 000000003968: 04621F0B
	v_cndmask_b32_e64 v49, v49, 0, s[40:41]                    // 00000000396C: D1000031 00A10131
	v_mov_b32_e32 v11, v15                                     // 000000003974: 7E16030F
	v_mul_f32_e32 v49, s64, v49                                // 000000003978: 0A626240
	v_exp_f32_e32 v49, v49                                     // 00000000397C: 7E624131
	s_waitcnt lgkmcnt(0)                                       // 000000003980: BF8CC07F
	s_barrier                                                  // 000000003984: BF8A0000
	ds_read_b32 v64, v7 offset:20992                           // 000000003988: D86C5200 40000007
	ds_read_b32 v65, v7 offset:21056                           // 000000003990: D86C5240 41000007
	ds_read_b32 v66, v7 offset:21120                           // 000000003998: D86C5280 42000007
	ds_read_b32 v67, v7 offset:21184                           // 0000000039A0: D86C52C0 43000007
	ds_read_b32 v68, v7 offset:21248                           // 0000000039A8: D86C5300 44000007
	ds_read_b32 v69, v7 offset:21312                           // 0000000039B0: D86C5340 45000007
	ds_read_b32 v70, v7 offset:21376                           // 0000000039B8: D86C5380 46000007
	ds_read_b32 v71, v7 offset:21440                           // 0000000039C0: D86C53C0 47000007
	ds_read_b32 v72, v7 offset:21504                           // 0000000039C8: D86C5400 48000007
	ds_read_b32 v73, v7 offset:21568                           // 0000000039D0: D86C5440 49000007
	ds_read_b32 v74, v7 offset:21632                           // 0000000039D8: D86C5480 4A000007
	ds_read_b32 v75, v7 offset:21696                           // 0000000039E0: D86C54C0 4B000007
	ds_read_b32 v76, v7 offset:21760                           // 0000000039E8: D86C5500 4C000007
	ds_read_b32 v77, v7 offset:21824                           // 0000000039F0: D86C5540 4D000007
	ds_read_b32 v78, v7 offset:21888                           // 0000000039F8: D86C5580 4E000007
	ds_read_b32 v79, v7 offset:21952                           // 000000003A00: D86C55C0 4F000007
	v_mul_f32_e32 v38, v49, v38                                // 000000003A08: 0A4C4D31
	v_mov_b32_e32 v15, v112                                    // 000000003A0C: 7E1E0370
	v_add_f32_e32 v15, v113, v15                               // 000000003A10: 021E1F71
	v_add_f32_e32 v15, v114, v15                               // 000000003A14: 021E1F72
	v_add_f32_e32 v15, v115, v15                               // 000000003A18: 021E1F73
	v_add_f32_e32 v15, v116, v15                               // 000000003A1C: 021E1F74
	v_add_f32_e32 v15, v117, v15                               // 000000003A20: 021E1F75
	v_add_f32_e32 v15, v118, v15                               // 000000003A24: 021E1F76
	v_add_f32_e32 v15, v119, v15                               // 000000003A28: 021E1F77
	v_add_f32_e32 v15, v120, v15                               // 000000003A2C: 021E1F78
	v_add_f32_e32 v15, v121, v15                               // 000000003A30: 021E1F79
	v_add_f32_e32 v15, v122, v15                               // 000000003A34: 021E1F7A
	v_add_f32_e32 v15, v123, v15                               // 000000003A38: 021E1F7B
	v_add_f32_e32 v15, v124, v15                               // 000000003A3C: 021E1F7C
	v_add_f32_e32 v15, v125, v15                               // 000000003A40: 021E1F7D
	v_add_f32_e32 v15, v126, v15                               // 000000003A44: 021E1F7E
	v_add_f32_e32 v15, v127, v15                               // 000000003A48: 021E1F7F
	v_add_f32_e32 v38, v15, v38                                // 000000003A4C: 024C4D0F
	s_waitcnt lgkmcnt(0)                                       // 000000003A50: BF8CC07F
	v_max3_f32 v48, |v64|, |v65|, v48                          // 000000003A54: D1D30330 04C28340
	v_max3_f32 v48, |v66|, |v67|, v48                          // 000000003A5C: D1D30330 04C28742
	v_max3_f32 v48, |v68|, |v69|, v48                          // 000000003A64: D1D30330 04C28B44
	v_max3_f32 v48, |v70|, |v71|, v48                          // 000000003A6C: D1D30330 04C28F46
	v_max3_f32 v48, |v72|, |v73|, v48                          // 000000003A74: D1D30330 04C29348
	v_max3_f32 v48, |v74|, |v75|, v48                          // 000000003A7C: D1D30330 04C2974A
	v_max3_f32 v48, |v76|, |v77|, v48                          // 000000003A84: D1D30330 04C29B4C
	v_max3_f32 v48, |v78|, |v79|, v48                          // 000000003A8C: D1D30330 04C29F4E
	s_nop 2                                                    // 000000003A94: BF800002
	v_rcp_f32_e32 v48, v48                                     // 000000003A98: 7E604530
	s_nop 1                                                    // 000000003A9C: BF800001
	v_mul_f32_e32 v48, 0x43e00000, v48                         // 000000003AA0: 0A6060FF 43E00000
	v_mul_f32_e32 v112, v48, v240                              // 000000003AA8: 0AE1E130
	v_mul_f32_e32 v113, v48, v241                              // 000000003AAC: 0AE3E330
	v_mul_f32_e32 v114, v48, v242                              // 000000003AB0: 0AE5E530
	v_mul_f32_e32 v115, v48, v243                              // 000000003AB4: 0AE7E730
	v_mul_f32_e32 v116, v48, v244                              // 000000003AB8: 0AE9E930
	v_mul_f32_e32 v117, v48, v245                              // 000000003ABC: 0AEBEB30
	v_mul_f32_e32 v118, v48, v246                              // 000000003AC0: 0AEDED30
	v_mul_f32_e32 v119, v48, v247                              // 000000003AC4: 0AEFEF30
	v_mul_f32_e32 v120, v48, v248                              // 000000003AC8: 0AF1F130
	v_mul_f32_e32 v121, v48, v249                              // 000000003ACC: 0AF3F330
	v_mul_f32_e32 v122, v48, v250                              // 000000003AD0: 0AF5F530
	v_mul_f32_e32 v123, v48, v251                              // 000000003AD4: 0AF7F730
	v_mul_f32_e32 v124, v48, v252                              // 000000003AD8: 0AF9F930
	v_mul_f32_e32 v125, v48, v253                              // 000000003ADC: 0AFBFB30
	v_mul_f32_e32 v126, v48, v254                              // 000000003AE0: 0AFDFD30
	v_mul_f32_e32 v127, v48, v255                              // 000000003AE4: 0AFFFF30
	v_cvt_pk_fp8_f32 v112, v112, v113                          // 000000003AE8: D2A20070 0002E370
	v_cvt_pk_fp8_f32 v112, v114, v115 op_sel:[0,0,1]           // 000000003AF0: D2A24070 0002E772
	v_cvt_pk_fp8_f32 v113, v116, v117                          // 000000003AF8: D2A20071 0002EB74
	v_cvt_pk_fp8_f32 v113, v118, v119 op_sel:[0,0,1]           // 000000003B00: D2A24071 0002EF76
	v_cvt_pk_fp8_f32 v114, v120, v121                          // 000000003B08: D2A20072 0002F378
	v_cvt_pk_fp8_f32 v114, v122, v123 op_sel:[0,0,1]           // 000000003B10: D2A24072 0002F77A
	v_cvt_pk_fp8_f32 v115, v124, v125                          // 000000003B18: D2A20073 0002FB7C
	v_cvt_pk_fp8_f32 v115, v126, v127 op_sel:[0,0,1]           // 000000003B20: D2A24073 0002FF7E
	ds_write_b32 v10, v112 offset:25088                        // 000000003B28: D81A6200 0000700A
	ds_write_b32 v10, v113 offset:26112                        // 000000003B30: D81A6600 0000710A
	ds_write_b32 v10, v114 offset:27136                        // 000000003B38: D81A6A00 0000720A
	ds_write_b32 v10, v115 offset:28160                        // 000000003B40: D81A6E00 0000730A
	v_add_f32_e32 v208, v208, v176                             // 000000003B48: 03A161D0
	v_add_f32_e32 v209, v209, v177                             // 000000003B4C: 03A363D1
	v_add_f32_e32 v210, v210, v178                             // 000000003B50: 03A565D2
	v_add_f32_e32 v211, v211, v179                             // 000000003B54: 03A767D3
	v_add_f32_e32 v212, v212, v180                             // 000000003B58: 03A969D4
	v_add_f32_e32 v213, v213, v181                             // 000000003B5C: 03AB6BD5
	v_add_f32_e32 v214, v214, v182                             // 000000003B60: 03AD6DD6
	v_add_f32_e32 v215, v215, v183                             // 000000003B64: 03AF6FD7
	v_rcp_f32_e32 v44, v48                                     // 000000003B68: 7E584530
	s_waitcnt lgkmcnt(0)                                       // 000000003B6C: BF8CC07F
	s_barrier                                                  // 000000003B70: BF8A0000
	ds_read_b64 v[112:113], v9 offset:25088                    // 000000003B74: D8EC6200 70000009
	ds_read_b64 v[114:115], v9 offset:25216                    // 000000003B7C: D8EC6280 72000009
	ds_read_b64 v[116:117], v9 offset:26112                    // 000000003B84: D8EC6600 74000009
	ds_read_b64 v[118:119], v9 offset:26240                    // 000000003B8C: D8EC6680 76000009
	ds_read_b64 v[120:121], v9 offset:27136                    // 000000003B94: D8EC6A00 78000009
	ds_read_b64 v[122:123], v9 offset:27264                    // 000000003B9C: D8EC6A80 7A000009
	ds_read_b64 v[124:125], v9 offset:28160                    // 000000003BA4: D8EC6E00 7C000009
	ds_read_b64 v[126:127], v9 offset:28288                    // 000000003BAC: D8EC6E80 7E000009
	s_waitcnt vmcnt(15)                                        // 000000003BB4: BF8C0F7F
	s_waitcnt lgkmcnt(7)                                       // 000000003BB8: BF8CC77F
	v_mfma_f32_16x16x32_fp8_fp8 v[176:179], a[96:97], v[112:113], 0// 000000003BBC: D3F300B0 0A02E160
	s_waitcnt lgkmcnt(6)                                       // 000000003BC4: BF8CC67F
	v_mfma_f32_16x16x32_fp8_fp8 v[176:179], a[98:99], v[114:115], v[176:179]// 000000003BC8: D3F300B0 0EC2E562
	buffer_load_dwordx4 a[80:83], v30, s[20:23], 0 offen offset:1024// 000000003BD0: E05C1400 8085501E
	s_waitcnt lgkmcnt(5)                                       // 000000003BD8: BF8CC57F
	v_mfma_f32_16x16x32_fp8_fp8 v[176:179], a[100:101], v[116:117], v[176:179]// 000000003BDC: D3F300B0 0EC2E964
	s_waitcnt lgkmcnt(4)                                       // 000000003BE4: BF8CC47F
	v_mfma_f32_16x16x32_fp8_fp8 v[176:179], a[102:103], v[118:119], v[176:179]// 000000003BE8: D3F300B0 0EC2ED66
	s_waitcnt lgkmcnt(3)                                       // 000000003BF0: BF8CC37F
	v_mfma_f32_16x16x32_fp8_fp8 v[176:179], a[104:105], v[120:121], v[176:179]// 000000003BF4: D3F300B0 0EC2F168
	s_waitcnt lgkmcnt(2)                                       // 000000003BFC: BF8CC27F
	v_mfma_f32_16x16x32_fp8_fp8 v[176:179], a[106:107], v[122:123], v[176:179]// 000000003C00: D3F300B0 0EC2F56A
	buffer_load_dwordx4 a[84:87], v31, s[20:23], 0 offen offset:1024// 000000003C08: E05C1400 8085541F
	s_waitcnt lgkmcnt(1)                                       // 000000003C10: BF8CC17F
	v_mfma_f32_16x16x32_fp8_fp8 v[176:179], a[108:109], v[124:125], v[176:179]// 000000003C14: D3F300B0 0EC2F96C
	s_waitcnt lgkmcnt(0)                                       // 000000003C1C: BF8CC07F
	v_mfma_f32_16x16x32_fp8_fp8 v[176:179], a[110:111], v[126:127], v[176:179]// 000000003C20: D3F300B0 0EC2FD6E
	v_mfma_f32_16x16x32_fp8_fp8 v[180:183], a[112:113], v[112:113], 0// 000000003C28: D3F300B4 0A02E170
	v_mfma_f32_16x16x32_fp8_fp8 v[180:183], a[114:115], v[114:115], v[180:183]// 000000003C30: D3F300B4 0ED2E572
	buffer_load_dwordx4 a[88:91], v32, s[20:23], 0 offen offset:1024// 000000003C38: E05C1400 80855820
	v_mfma_f32_16x16x32_fp8_fp8 v[180:183], a[116:117], v[116:117], v[180:183]// 000000003C40: D3F300B4 0ED2E974
	v_mfma_f32_16x16x32_fp8_fp8 v[180:183], a[118:119], v[118:119], v[180:183]// 000000003C48: D3F300B4 0ED2ED76
	v_mfma_f32_16x16x32_fp8_fp8 v[180:183], a[120:121], v[120:121], v[180:183]// 000000003C50: D3F300B4 0ED2F178
	v_mfma_f32_16x16x32_fp8_fp8 v[180:183], a[122:123], v[122:123], v[180:183]// 000000003C58: D3F300B4 0ED2F57A
	buffer_load_dwordx4 a[92:95], v33, s[20:23], 0 offen offset:1024// 000000003C60: E05C1400 80855C21
	v_mfma_f32_16x16x32_fp8_fp8 v[180:183], a[124:125], v[124:125], v[180:183]// 000000003C68: D3F300B4 0ED2F97C
	s_lshr_b32 s57, s70, 4                                     // 000000003C70: 8F398446
	s_add_u32 s57, 48, s57                                     // 000000003C74: 803939B0
	v_mfma_f32_16x16x32_fp8_fp8 v[180:183], a[126:127], v[126:127], v[180:183]// 000000003C78: D3F300B4 0ED2FD7E
	s_cmp_ge_u32 s57, s73                                      // 000000003C80: BF094939
	s_cselect_b32 s56, 0, s56                                  // 000000003C84: 85383880
	v_add_u32_e32 v1, s56, v1                                  // 000000003C88: 68020238
	s_addk_i32 s70, 0x100                                      // 000000003C8C: B7460100
	s_cmp_lt_i32 s70, s71                                      // 000000003C90: BF044746
	s_cbranch_scc0 label_06A7                                  // 000000003C94: BF840001
	s_branch label_020A                                        // 000000003C98: BF82FB63

0000000000003c9c <label_06A7>:
	s_nop 0                                                    // 000000003C9C: BF800000
	s_nop 0                                                    // 000000003CA0: BF800000
	s_branch label_0B47                                        // 000000003CA4: BF82049D

0000000000003ca8 <label_06AA>:
	s_waitcnt vmcnt(8) lgkmcnt(0)                              // 000000003CA8: BF8C0078
	v_mul_u32_u24_dpp v64, v17, v54 row_newbcast:0 row_mask:0xf bank_mask:0xf// 000000003CAC: 10806CFA FF015011
	v_mul_u32_u24_dpp v65, v17, v54 row_newbcast:4 row_mask:0xf bank_mask:0xf// 000000003CB4: 10826CFA FF015411
	v_mul_u32_u24_dpp v66, v17, v54 row_newbcast:8 row_mask:0xf bank_mask:0xf// 000000003CBC: 10846CFA FF015811
	v_mul_u32_u24_dpp v67, v17, v54 row_newbcast:12 row_mask:0xf bank_mask:0xf// 000000003CC4: 10866CFA FF015C11
	v_add_u32_e32 v26, v64, v5                                 // 000000003CCC: 68340B40
	v_add_u32_e32 v27, v65, v5                                 // 000000003CD0: 68360B41
	v_add_u32_e32 v28, v66, v5                                 // 000000003CD4: 68380B42
	v_add_u32_e32 v29, v67, v5                                 // 000000003CD8: 683A0B43
	v_mul_u32_u24_dpp v64, v17, v63 quad_perm:[0,0,0,0] row_mask:0xf bank_mask:0xf// 000000003CDC: 10807EFA FF000011
	v_add_u32_e32 v3, v64, v59                                 // 000000003CE4: 68067740
	v_mul_u32_u24_dpp v64, v17, v63 quad_perm:[0,0,0,0] row_mask:0xf bank_mask:0xf// 000000003CE8: 10807EFA FF000011
	v_add_u32_e32 v56, v64, v60                                // 000000003CF0: 68707940
	v_mfma_f32_16x16x32_fp8_fp8 v[112:115], a[0:1], v[80:81], 0// 000000003CF4: D3F30070 0A02A100
	buffer_load_dwordx4 a[32:35], v26, s[16:19], 0 offen       // 000000003CFC: E05C1000 8084201A
	v_mfma_f32_16x16x32_fp8_fp8 v[112:115], a[2:3], v[82:83], v[112:115]// 000000003D04: D3F30070 0DC2A502
	v_mfma_f32_16x16x32_fp8_fp8 v[112:115], a[4:5], v[84:85], v[112:115]// 000000003D0C: D3F30070 0DC2A904
	buffer_load_dword v16, v1, s[24:27], 0 offen               // 000000003D14: E0501000 80061001
	v_mfma_f32_16x16x32_fp8_fp8 v[112:115], a[6:7], v[86:87], v[112:115]// 000000003D1C: D3F30070 0DC2AD06
	v_mfma_f32_16x16x32_fp8_fp8 v[116:119], a[8:9], v[80:81], 0// 000000003D24: D3F30074 0A02A108
	buffer_load_dwordx4 a[36:39], v26, s[16:19], 0 offen offset:1024// 000000003D2C: E05C1400 8084241A
	v_mfma_f32_16x16x32_fp8_fp8 v[116:119], a[10:11], v[82:83], v[116:119]// 000000003D34: D3F30074 0DD2A50A
	v_mfma_f32_16x16x32_fp8_fp8 v[116:119], a[12:13], v[84:85], v[116:119]// 000000003D3C: D3F30074 0DD2A90C
	v_mfma_f32_16x16x32_fp8_fp8 v[116:119], a[14:15], v[86:87], v[116:119]// 000000003D44: D3F30074 0DD2AD0E
	v_mfma_f32_16x16x32_fp8_fp8 v[120:123], a[16:17], v[80:81], 0// 000000003D4C: D3F30078 0A02A110
	buffer_load_dwordx4 a[40:43], v27, s[16:19], 0 offen       // 000000003D54: E05C1000 8084281B
	v_mfma_f32_16x16x32_fp8_fp8 v[120:123], a[18:19], v[82:83], v[120:123]// 000000003D5C: D3F30078 0DE2A512
	v_mfma_f32_16x16x32_fp8_fp8 v[120:123], a[20:21], v[84:85], v[120:123]// 000000003D64: D3F30078 0DE2A914
	v_mfma_f32_16x16x32_fp8_fp8 v[120:123], a[22:23], v[86:87], v[120:123]// 000000003D6C: D3F30078 0DE2AD16
	v_mfma_f32_16x16x32_fp8_fp8 v[124:127], a[24:25], v[80:81], 0// 000000003D74: D3F3007C 0A02A118
	buffer_load_dwordx4 a[44:47], v27, s[16:19], 0 offen offset:1024// 000000003D7C: E05C1400 80842C1B
	v_mfma_f32_16x16x32_fp8_fp8 v[124:127], a[26:27], v[82:83], v[124:127]// 000000003D84: D3F3007C 0DF2A51A
	v_mfma_f32_16x16x32_fp8_fp8 v[124:127], a[28:29], v[84:85], v[124:127]// 000000003D8C: D3F3007C 0DF2A91C
	v_mfma_f32_16x16x32_fp8_fp8 v[124:127], a[30:31], v[86:87], v[124:127]// 000000003D94: D3F3007C 0DF2AD1E
	buffer_load_dword v43, v3, s[32:35], 0 offen               // 000000003D9C: E0501000 80082B03
	v_mov_b32_dpp v64, v42 row_shr:4 row_mask:0xf bank_mask:0xf// 000000003DA4: 7E8002FA FF01142A
	v_mov_b32_dpp v65, v42 row_shl:4 row_mask:0xf bank_mask:0xf// 000000003DAC: 7E8202FA FF01042A
	v_cndmask_b32_e64 v248, v42, v64, s[44:45]                 // 000000003DB4: D10000F8 00B2812A
	v_cndmask_b32_e64 v249, v65, v42, s[44:45]                 // 000000003DBC: D10000F9 00B25541
	v_mov_b32_dpp v64, v248 row_shr:8 row_mask:0xf bank_mask:0xf// 000000003DC4: 7E8002FA FF0118F8
	v_mov_b32_dpp v65, v248 row_shl:8 row_mask:0xf bank_mask:0xf// 000000003DCC: 7E8202FA FF0108F8
	v_mov_b32_dpp v66, v249 row_shr:8 row_mask:0xf bank_mask:0xf// 000000003DD4: 7E8402FA FF0118F9
	v_mov_b32_dpp v67, v249 row_shl:8 row_mask:0xf bank_mask:0xf// 000000003DDC: 7E8602FA FF0108F9
	v_mov_b32_e32 v68, v248                                    // 000000003DE4: 7E8803F8
	v_mov_b32_e32 v69, v249                                    // 000000003DE8: 7E8A03F9
	v_cndmask_b32_e64 v248, v68, v64, s[42:43]                 // 000000003DEC: D10000F8 00AA8144
	v_cndmask_b32_e64 v250, v68, v65, s[78:79]                 // 000000003DF4: D10000FA 013A8344
	v_cndmask_b32_e64 v249, v69, v66, s[42:43]                 // 000000003DFC: D10000F9 00AA8545
	v_cndmask_b32_e64 v251, v69, v67, s[78:79]                 // 000000003E04: D10000FB 013A8745
	v_mov_b32_dpp v64, v57 row_shr:4 row_mask:0xf bank_mask:0xf// 000000003E0C: 7E8002FA FF011439
	v_mov_b32_dpp v65, v57 row_shl:4 row_mask:0xf bank_mask:0xf// 000000003E14: 7E8202FA FF010439
	v_cndmask_b32_e64 v252, v57, v64, s[44:45]                 // 000000003E1C: D10000FC 00B28139
	v_cndmask_b32_e64 v253, v65, v57, s[44:45]                 // 000000003E24: D10000FD 00B27341
	v_mov_b32_dpp v64, v252 row_shr:8 row_mask:0xf bank_mask:0xf// 000000003E2C: 7E8002FA FF0118FC
	v_mov_b32_dpp v65, v252 row_shl:8 row_mask:0xf bank_mask:0xf// 000000003E34: 7E8202FA FF0108FC
	v_mov_b32_dpp v66, v253 row_shr:8 row_mask:0xf bank_mask:0xf// 000000003E3C: 7E8402FA FF0118FD
	v_mov_b32_dpp v67, v253 row_shl:8 row_mask:0xf bank_mask:0xf// 000000003E44: 7E8602FA FF0108FD
	v_mov_b32_e32 v68, v252                                    // 000000003E4C: 7E8803FC
	v_mov_b32_e32 v69, v253                                    // 000000003E50: 7E8A03FD
	v_cndmask_b32_e64 v252, v68, v64, s[42:43]                 // 000000003E54: D10000FC 00AA8144
	v_cndmask_b32_e64 v254, v68, v65, s[78:79]                 // 000000003E5C: D10000FE 013A8344
	v_cndmask_b32_e64 v253, v69, v66, s[42:43]                 // 000000003E64: D10000FD 00AA8545
	v_cndmask_b32_e64 v255, v69, v67, s[78:79]                 // 000000003E6C: D10000FF 013A8745
	buffer_load_dword v58, v56, s[36:39], 0 offen              // 000000003E74: E0501000 80093A38
	v_mul_f32_e32 v112, v18, v112                              // 000000003E7C: 0AE0E112
	v_mul_f32_e32 v113, v18, v113                              // 000000003E80: 0AE2E312
	v_mul_f32_e32 v114, v18, v114                              // 000000003E84: 0AE4E512
	v_mul_f32_e32 v115, v18, v115                              // 000000003E88: 0AE6E712
	v_mul_f32_e32 v116, v18, v116                              // 000000003E8C: 0AE8E912
	v_mul_f32_e32 v117, v18, v117                              // 000000003E90: 0AEAEB12
	v_mul_f32_e32 v118, v18, v118                              // 000000003E94: 0AECED12
	v_mul_f32_e32 v119, v18, v119                              // 000000003E98: 0AEEEF12
	v_mul_f32_e32 v120, v18, v120                              // 000000003E9C: 0AF0F112
	v_mul_f32_e32 v121, v18, v121                              // 000000003EA0: 0AF2F312
	v_mul_f32_e32 v122, v18, v122                              // 000000003EA4: 0AF4F512
	v_mul_f32_e32 v123, v18, v123                              // 000000003EA8: 0AF6F712
	v_mul_f32_e32 v124, v18, v124                              // 000000003EAC: 0AF8F912
	v_mul_f32_e32 v125, v18, v125                              // 000000003EB0: 0AFAFB12
	v_mul_f32_e32 v126, v18, v126                              // 000000003EB4: 0AFCFD12
	v_mul_f32_e32 v127, v18, v127                              // 000000003EB8: 0AFEFF12
	buffer_load_dwordx4 a[48:51], v28, s[16:19], 0 offen       // 000000003EBC: E05C1000 8084301C
	v_mul_f32_dpp v112, v248, v112 quad_perm:[0,0,0,0] row_mask:0xf bank_mask:0xf// 000000003EC4: 0AE0E0FA FF0000F8
	v_mul_f32_dpp v113, v248, v113 quad_perm:[1,1,1,1] row_mask:0xf bank_mask:0xf// 000000003ECC: 0AE2E2FA FF0055F8
	v_mul_f32_dpp v114, v248, v114 quad_perm:[2,2,2,2] row_mask:0xf bank_mask:0xf// 000000003ED4: 0AE4E4FA FF00AAF8
	v_mul_f32_dpp v115, v248, v115 quad_perm:[3,3,3,3] row_mask:0xf bank_mask:0xf// 000000003EDC: 0AE6E6FA FF00FFF8
	v_mul_f32_dpp v116, v249, v116 quad_perm:[0,0,0,0] row_mask:0xf bank_mask:0xf// 000000003EE4: 0AE8E8FA FF0000F9
	v_mul_f32_dpp v117, v249, v117 quad_perm:[1,1,1,1] row_mask:0xf bank_mask:0xf// 000000003EEC: 0AEAEAFA FF0055F9
	v_mul_f32_dpp v118, v249, v118 quad_perm:[2,2,2,2] row_mask:0xf bank_mask:0xf// 000000003EF4: 0AECECFA FF00AAF9
	v_mul_f32_dpp v119, v249, v119 quad_perm:[3,3,3,3] row_mask:0xf bank_mask:0xf// 000000003EFC: 0AEEEEFA FF00FFF9
	v_mul_f32_dpp v120, v250, v120 quad_perm:[0,0,0,0] row_mask:0xf bank_mask:0xf// 000000003F04: 0AF0F0FA FF0000FA
	v_mul_f32_dpp v121, v250, v121 quad_perm:[1,1,1,1] row_mask:0xf bank_mask:0xf// 000000003F0C: 0AF2F2FA FF0055FA
	v_mul_f32_dpp v122, v250, v122 quad_perm:[2,2,2,2] row_mask:0xf bank_mask:0xf// 000000003F14: 0AF4F4FA FF00AAFA
	v_mul_f32_dpp v123, v250, v123 quad_perm:[3,3,3,3] row_mask:0xf bank_mask:0xf// 000000003F1C: 0AF6F6FA FF00FFFA
	v_mul_f32_dpp v124, v251, v124 quad_perm:[0,0,0,0] row_mask:0xf bank_mask:0xf// 000000003F24: 0AF8F8FA FF0000FB
	v_mul_f32_dpp v125, v251, v125 quad_perm:[1,1,1,1] row_mask:0xf bank_mask:0xf// 000000003F2C: 0AFAFAFA FF0055FB
	v_mul_f32_dpp v126, v251, v126 quad_perm:[2,2,2,2] row_mask:0xf bank_mask:0xf// 000000003F34: 0AFCFCFA FF00AAFB
	v_mul_f32_dpp v127, v251, v127 quad_perm:[3,3,3,3] row_mask:0xf bank_mask:0xf// 000000003F3C: 0AFEFEFA FF00FFFB
	buffer_load_dwordx4 a[52:55], v28, s[16:19], 0 offen offset:1024// 000000003F44: E05C1400 8084341C
	v_mov_b32_e32 v48, v112                                    // 000000003F4C: 7E600370
	v_max3_f32 v48, v112, v113, v48                            // 000000003F50: D1D30030 04C2E370
	v_max3_f32 v48, v114, v115, v48                            // 000000003F58: D1D30030 04C2E772
	v_max3_f32 v48, v116, v117, v48                            // 000000003F60: D1D30030 04C2EB74
	v_max3_f32 v48, v118, v119, v48                            // 000000003F68: D1D30030 04C2EF76
	v_max3_f32 v48, v120, v121, v48                            // 000000003F70: D1D30030 04C2F378
	v_max3_f32 v48, v122, v123, v48                            // 000000003F78: D1D30030 04C2F77A
	v_max3_f32 v48, v124, v125, v48                            // 000000003F80: D1D30030 04C2FB7C
	v_max3_f32 v48, v126, v127, v48                            // 000000003F88: D1D30030 04C2FF7E
	ds_write_b32 v8, v48 offset:16896                          // 000000003F90: D81A4200 00003008
	buffer_load_dwordx4 a[56:59], v29, s[16:19], 0 offen       // 000000003F98: E05C1000 8084381D
	v_mul_u32_u24_dpp v64, v17, v54 row_newbcast:1 row_mask:0xf bank_mask:0xf// 000000003FA0: 10806CFA FF015111
	v_mul_u32_u24_dpp v65, v17, v54 row_newbcast:5 row_mask:0xf bank_mask:0xf// 000000003FA8: 10826CFA FF015511
	v_mul_u32_u24_dpp v66, v17, v54 row_newbcast:9 row_mask:0xf bank_mask:0xf// 000000003FB0: 10846CFA FF015911
	v_mul_u32_u24_dpp v67, v17, v54 row_newbcast:13 row_mask:0xf bank_mask:0xf// 000000003FB8: 10866CFA FF015D11
	v_add_u32_e32 v34, v64, v6                                 // 000000003FC0: 68440D40
	v_add_u32_e32 v35, v65, v6                                 // 000000003FC4: 68460D41
	v_add_u32_e32 v36, v66, v6                                 // 000000003FC8: 68480D42
	v_add_u32_e32 v37, v67, v6                                 // 000000003FCC: 684A0D43
	v_mul_f32_e32 v208, v49, v208                              // 000000003FD0: 0BA1A131
	v_mul_f32_e32 v209, v49, v209                              // 000000003FD4: 0BA3A331
	v_mul_f32_e32 v210, v49, v210                              // 000000003FD8: 0BA5A531
	v_mul_f32_e32 v211, v49, v211                              // 000000003FDC: 0BA7A731
	v_mul_f32_e32 v212, v49, v212                              // 000000003FE0: 0BA9A931
	v_mul_f32_e32 v213, v49, v213                              // 000000003FE4: 0BABAB31
	v_mul_f32_e32 v214, v49, v214                              // 000000003FE8: 0BADAD31
	v_mul_f32_e32 v215, v49, v215                              // 000000003FEC: 0BAFAF31
	s_waitcnt lgkmcnt(0)                                       // 000000003FF0: BF8CC07F
	s_barrier                                                  // 000000003FF4: BF8A0000
	ds_read_b32 v64, v7 offset:16896                           // 000000003FF8: D86C4200 40000007
	ds_read_b32 v65, v7 offset:16960                           // 000000004000: D86C4240 41000007
	ds_read_b32 v66, v7 offset:17024                           // 000000004008: D86C4280 42000007
	ds_read_b32 v67, v7 offset:17088                           // 000000004010: D86C42C0 43000007
	ds_read_b32 v68, v7 offset:17152                           // 000000004018: D86C4300 44000007
	ds_read_b32 v69, v7 offset:17216                           // 000000004020: D86C4340 45000007
	ds_read_b32 v70, v7 offset:17280                           // 000000004028: D86C4380 46000007
	ds_read_b32 v71, v7 offset:17344                           // 000000004030: D86C43C0 47000007
	ds_read_b32 v72, v7 offset:17408                           // 000000004038: D86C4400 48000007
	ds_read_b32 v73, v7 offset:17472                           // 000000004040: D86C4440 49000007
	ds_read_b32 v74, v7 offset:17536                           // 000000004048: D86C4480 4A000007
	ds_read_b32 v75, v7 offset:17600                           // 000000004050: D86C44C0 4B000007
	ds_read_b32 v76, v7 offset:17664                           // 000000004058: D86C4500 4C000007
	ds_read_b32 v77, v7 offset:17728                           // 000000004060: D86C4540 4D000007
	ds_read_b32 v78, v7 offset:17792                           // 000000004068: D86C4580 4E000007
	ds_read_b32 v79, v7 offset:17856                           // 000000004070: D86C45C0 4F000007
	buffer_load_dwordx4 a[60:63], v29, s[16:19], 0 offen offset:1024// 000000004078: E05C1400 80843C1D
	v_mul_f32_e32 v176, v44, v176                              // 000000004080: 0B61612C
	v_mul_f32_e32 v177, v44, v177                              // 000000004084: 0B63632C
	v_mul_f32_e32 v178, v44, v178                              // 000000004088: 0B65652C
	v_mul_f32_e32 v179, v44, v179                              // 00000000408C: 0B67672C
	v_mul_f32_e32 v180, v44, v180                              // 000000004090: 0B69692C
	v_mul_f32_e32 v181, v44, v181                              // 000000004094: 0B6B6B2C
	v_mul_f32_e32 v182, v44, v182                              // 000000004098: 0B6D6D2C
	v_mul_f32_e32 v183, v44, v183                              // 00000000409C: 0B6F6F2C
	s_waitcnt lgkmcnt(0)                                       // 0000000040A0: BF8CC07F
	v_max3_f32 v48, v64, v65, v48                              // 0000000040A4: D1D30030 04C28340
	v_max3_f32 v48, v66, v67, v48                              // 0000000040AC: D1D30030 04C28742
	v_max3_f32 v48, v68, v69, v48                              // 0000000040B4: D1D30030 04C28B44
	v_max3_f32 v48, v70, v71, v48                              // 0000000040BC: D1D30030 04C28F46
	v_max3_f32 v48, v72, v73, v48                              // 0000000040C4: D1D30030 04C29348
	v_max3_f32 v48, v74, v75, v48                              // 0000000040CC: D1D30030 04C2974A
	v_max3_f32 v48, v76, v77, v48                              // 0000000040D4: D1D30030 04C29B4C
	v_max3_f32 v48, v78, v79, v48                              // 0000000040DC: D1D30030 04C29F4E
	buffer_load_dwordx4 a[96:99], v34, s[20:23], 0 offen       // 0000000040E4: E05C1000 80856022
	v_mov_b32_e32 v64, 0xff800000                              // 0000000040EC: 7E8002FF FF800000
	v_cmp_eq_u32_e64 s[40:41], v64, v11                        // 0000000040F4: D0CA0028 00021740
	s_nop 1                                                    // 0000000040FC: BF800001
	v_max_f32_e32 v15, v48, v11                                // 000000004100: 161E1730
	v_mul_f32_e32 v53, s64, v15                                // 000000004104: 0A6A1E40
	v_fma_f32 v112, v112, s64, -v53                            // 000000004108: D1CB0070 84D48170
	v_fma_f32 v113, v113, s64, -v53                            // 000000004110: D1CB0071 84D48171
	v_fma_f32 v114, v114, s64, -v53                            // 000000004118: D1CB0072 84D48172
	v_fma_f32 v115, v115, s64, -v53                            // 000000004120: D1CB0073 84D48173
	v_fma_f32 v116, v116, s64, -v53                            // 000000004128: D1CB0074 84D48174
	v_fma_f32 v117, v117, s64, -v53                            // 000000004130: D1CB0075 84D48175
	v_fma_f32 v118, v118, s64, -v53                            // 000000004138: D1CB0076 84D48176
	v_fma_f32 v119, v119, s64, -v53                            // 000000004140: D1CB0077 84D48177
	v_fma_f32 v120, v120, s64, -v53                            // 000000004148: D1CB0078 84D48178
	v_fma_f32 v121, v121, s64, -v53                            // 000000004150: D1CB0079 84D48179
	v_fma_f32 v122, v122, s64, -v53                            // 000000004158: D1CB007A 84D4817A
	v_fma_f32 v123, v123, s64, -v53                            // 000000004160: D1CB007B 84D4817B
	v_fma_f32 v124, v124, s64, -v53                            // 000000004168: D1CB007C 84D4817C
	v_fma_f32 v125, v125, s64, -v53                            // 000000004170: D1CB007D 84D4817D
	v_fma_f32 v126, v126, s64, -v53                            // 000000004178: D1CB007E 84D4817E
	v_fma_f32 v127, v127, s64, -v53                            // 000000004180: D1CB007F 84D4817F
	buffer_load_dwordx4 a[100:103], v35, s[20:23], 0 offen     // 000000004188: E05C1000 80856423
	v_exp_f32_e32 v112, v112                                   // 000000004190: 7EE04170
	v_exp_f32_e32 v113, v113                                   // 000000004194: 7EE24171
	v_exp_f32_e32 v114, v114                                   // 000000004198: 7EE44172
	v_exp_f32_e32 v115, v115                                   // 00000000419C: 7EE64173
	v_exp_f32_e32 v116, v116                                   // 0000000041A0: 7EE84174
	v_exp_f32_e32 v117, v117                                   // 0000000041A4: 7EEA4175
	v_exp_f32_e32 v118, v118                                   // 0000000041A8: 7EEC4176
	v_exp_f32_e32 v119, v119                                   // 0000000041AC: 7EEE4177
	v_exp_f32_e32 v120, v120                                   // 0000000041B0: 7EF04178
	v_exp_f32_e32 v121, v121                                   // 0000000041B4: 7EF24179
	v_exp_f32_e32 v122, v122                                   // 0000000041B8: 7EF4417A
	v_exp_f32_e32 v123, v123                                   // 0000000041BC: 7EF6417B
	v_exp_f32_e32 v124, v124                                   // 0000000041C0: 7EF8417C
	v_exp_f32_e32 v125, v125                                   // 0000000041C4: 7EFA417D
	v_exp_f32_e32 v126, v126                                   // 0000000041C8: 7EFC417E
	v_exp_f32_e32 v127, v127                                   // 0000000041CC: 7EFE417F
	buffer_load_dwordx4 a[104:107], v36, s[20:23], 0 offen     // 0000000041D0: E05C1000 80856824
	v_mul_f32_dpp v240, v252, v112 quad_perm:[0,0,0,0] row_mask:0xf bank_mask:0xf// 0000000041D8: 0BE0E0FA FF0000FC
	v_mul_f32_dpp v241, v252, v113 quad_perm:[1,1,1,1] row_mask:0xf bank_mask:0xf// 0000000041E0: 0BE2E2FA FF0055FC
	v_mul_f32_dpp v242, v252, v114 quad_perm:[2,2,2,2] row_mask:0xf bank_mask:0xf// 0000000041E8: 0BE4E4FA FF00AAFC
	v_mul_f32_dpp v243, v252, v115 quad_perm:[3,3,3,3] row_mask:0xf bank_mask:0xf// 0000000041F0: 0BE6E6FA FF00FFFC
	v_mul_f32_dpp v244, v253, v116 quad_perm:[0,0,0,0] row_mask:0xf bank_mask:0xf// 0000000041F8: 0BE8E8FA FF0000FD
	v_mul_f32_dpp v245, v253, v117 quad_perm:[1,1,1,1] row_mask:0xf bank_mask:0xf// 000000004200: 0BEAEAFA FF0055FD
	v_mul_f32_dpp v246, v253, v118 quad_perm:[2,2,2,2] row_mask:0xf bank_mask:0xf// 000000004208: 0BECECFA FF00AAFD
	v_mul_f32_dpp v247, v253, v119 quad_perm:[3,3,3,3] row_mask:0xf bank_mask:0xf// 000000004210: 0BEEEEFA FF00FFFD
	v_mul_f32_dpp v248, v254, v120 quad_perm:[0,0,0,0] row_mask:0xf bank_mask:0xf// 000000004218: 0BF0F0FA FF0000FE
	v_mul_f32_dpp v249, v254, v121 quad_perm:[1,1,1,1] row_mask:0xf bank_mask:0xf// 000000004220: 0BF2F2FA FF0055FE
	v_mul_f32_dpp v250, v254, v122 quad_perm:[2,2,2,2] row_mask:0xf bank_mask:0xf// 000000004228: 0BF4F4FA FF00AAFE
	v_mul_f32_dpp v251, v254, v123 quad_perm:[3,3,3,3] row_mask:0xf bank_mask:0xf// 000000004230: 0BF6F6FA FF00FFFE
	v_mul_f32_dpp v252, v255, v124 quad_perm:[0,0,0,0] row_mask:0xf bank_mask:0xf// 000000004238: 0BF8F8FA FF0000FF
	v_mul_f32_dpp v253, v255, v125 quad_perm:[1,1,1,1] row_mask:0xf bank_mask:0xf// 000000004240: 0BFAFAFA FF0055FF
	v_mul_f32_dpp v254, v255, v126 quad_perm:[2,2,2,2] row_mask:0xf bank_mask:0xf// 000000004248: 0BFCFCFA FF00AAFF
	v_mul_f32_dpp v255, v255, v127 quad_perm:[3,3,3,3] row_mask:0xf bank_mask:0xf// 000000004250: 0BFEFEFA FF00FFFF
	v_mov_b32_e32 v48, 0x358637bd                              // 000000004258: 7E6002FF 358637BD
	v_max3_f32 v48, |v240|, |v241|, v48                        // 000000004260: D1D30330 04C3E3F0
	v_max3_f32 v48, |v242|, |v243|, v48                        // 000000004268: D1D30330 04C3E7F2
	v_max3_f32 v48, |v244|, |v245|, v48                        // 000000004270: D1D30330 04C3EBF4
	v_max3_f32 v48, |v246|, |v247|, v48                        // 000000004278: D1D30330 04C3EFF6
	v_max3_f32 v48, |v248|, |v249|, v48                        // 000000004280: D1D30330 04C3F3F8
	v_max3_f32 v48, |v250|, |v251|, v48                        // 000000004288: D1D30330 04C3F7FA
	v_max3_f32 v48, |v252|, |v253|, v48                        // 000000004290: D1D30330 04C3FBFC
	v_max3_f32 v48, |v254|, |v255|, v48                        // 000000004298: D1D30330 04C3FFFE
	buffer_load_dwordx4 a[108:111], v37, s[20:23], 0 offen     // 0000000042A0: E05C1000 80856C25
	ds_write_b32 v8, v48 offset:20992                          // 0000000042A8: D81A5200 00003008
	v_sub_f32_e32 v49, v11, v15                                // 0000000042B0: 04621F0B
	v_cndmask_b32_e64 v49, v49, 0, s[40:41]                    // 0000000042B4: D1000031 00A10131
	v_mov_b32_e32 v11, v15                                     // 0000000042BC: 7E16030F
	v_mul_f32_e32 v49, s64, v49                                // 0000000042C0: 0A626240
	v_exp_f32_e32 v49, v49                                     // 0000000042C4: 7E624131
	s_waitcnt lgkmcnt(0)                                       // 0000000042C8: BF8CC07F
	s_barrier                                                  // 0000000042CC: BF8A0000
	ds_read_b32 v64, v7 offset:20992                           // 0000000042D0: D86C5200 40000007
	ds_read_b32 v65, v7 offset:21056                           // 0000000042D8: D86C5240 41000007
	ds_read_b32 v66, v7 offset:21120                           // 0000000042E0: D86C5280 42000007
	ds_read_b32 v67, v7 offset:21184                           // 0000000042E8: D86C52C0 43000007
	ds_read_b32 v68, v7 offset:21248                           // 0000000042F0: D86C5300 44000007
	ds_read_b32 v69, v7 offset:21312                           // 0000000042F8: D86C5340 45000007
	ds_read_b32 v70, v7 offset:21376                           // 000000004300: D86C5380 46000007
	ds_read_b32 v71, v7 offset:21440                           // 000000004308: D86C53C0 47000007
	ds_read_b32 v72, v7 offset:21504                           // 000000004310: D86C5400 48000007
	ds_read_b32 v73, v7 offset:21568                           // 000000004318: D86C5440 49000007
	ds_read_b32 v74, v7 offset:21632                           // 000000004320: D86C5480 4A000007
	ds_read_b32 v75, v7 offset:21696                           // 000000004328: D86C54C0 4B000007
	ds_read_b32 v76, v7 offset:21760                           // 000000004330: D86C5500 4C000007
	ds_read_b32 v77, v7 offset:21824                           // 000000004338: D86C5540 4D000007
	ds_read_b32 v78, v7 offset:21888                           // 000000004340: D86C5580 4E000007
	ds_read_b32 v79, v7 offset:21952                           // 000000004348: D86C55C0 4F000007
	v_mul_f32_e32 v38, v49, v38                                // 000000004350: 0A4C4D31
	v_mov_b32_e32 v15, v112                                    // 000000004354: 7E1E0370
	v_add_f32_e32 v15, v113, v15                               // 000000004358: 021E1F71
	v_add_f32_e32 v15, v114, v15                               // 00000000435C: 021E1F72
	v_add_f32_e32 v15, v115, v15                               // 000000004360: 021E1F73
	v_add_f32_e32 v15, v116, v15                               // 000000004364: 021E1F74
	v_add_f32_e32 v15, v117, v15                               // 000000004368: 021E1F75
	v_add_f32_e32 v15, v118, v15                               // 00000000436C: 021E1F76
	v_add_f32_e32 v15, v119, v15                               // 000000004370: 021E1F77
	v_add_f32_e32 v15, v120, v15                               // 000000004374: 021E1F78
	v_add_f32_e32 v15, v121, v15                               // 000000004378: 021E1F79
	v_add_f32_e32 v15, v122, v15                               // 00000000437C: 021E1F7A
	v_add_f32_e32 v15, v123, v15                               // 000000004380: 021E1F7B
	v_add_f32_e32 v15, v124, v15                               // 000000004384: 021E1F7C
	v_add_f32_e32 v15, v125, v15                               // 000000004388: 021E1F7D
	v_add_f32_e32 v15, v126, v15                               // 00000000438C: 021E1F7E
	v_add_f32_e32 v15, v127, v15                               // 000000004390: 021E1F7F
	v_add_f32_e32 v38, v15, v38                                // 000000004394: 024C4D0F
	s_waitcnt lgkmcnt(0)                                       // 000000004398: BF8CC07F
	v_max3_f32 v48, |v64|, |v65|, v48                          // 00000000439C: D1D30330 04C28340
	v_max3_f32 v48, |v66|, |v67|, v48                          // 0000000043A4: D1D30330 04C28742
	v_max3_f32 v48, |v68|, |v69|, v48                          // 0000000043AC: D1D30330 04C28B44
	v_max3_f32 v48, |v70|, |v71|, v48                          // 0000000043B4: D1D30330 04C28F46
	v_max3_f32 v48, |v72|, |v73|, v48                          // 0000000043BC: D1D30330 04C29348
	v_max3_f32 v48, |v74|, |v75|, v48                          // 0000000043C4: D1D30330 04C2974A
	v_max3_f32 v48, |v76|, |v77|, v48                          // 0000000043CC: D1D30330 04C29B4C
	v_max3_f32 v48, |v78|, |v79|, v48                          // 0000000043D4: D1D30330 04C29F4E
	s_nop 2                                                    // 0000000043DC: BF800002
	v_rcp_f32_e32 v48, v48                                     // 0000000043E0: 7E604530
	s_nop 1                                                    // 0000000043E4: BF800001
	v_mul_f32_e32 v48, 0x43e00000, v48                         // 0000000043E8: 0A6060FF 43E00000
	v_mul_f32_e32 v112, v48, v240                              // 0000000043F0: 0AE1E130
	v_mul_f32_e32 v113, v48, v241                              // 0000000043F4: 0AE3E330
	v_mul_f32_e32 v114, v48, v242                              // 0000000043F8: 0AE5E530
	v_mul_f32_e32 v115, v48, v243                              // 0000000043FC: 0AE7E730
	v_mul_f32_e32 v116, v48, v244                              // 000000004400: 0AE9E930
	v_mul_f32_e32 v117, v48, v245                              // 000000004404: 0AEBEB30
	v_mul_f32_e32 v118, v48, v246                              // 000000004408: 0AEDED30
	v_mul_f32_e32 v119, v48, v247                              // 00000000440C: 0AEFEF30
	v_mul_f32_e32 v120, v48, v248                              // 000000004410: 0AF1F130
	v_mul_f32_e32 v121, v48, v249                              // 000000004414: 0AF3F330
	v_mul_f32_e32 v122, v48, v250                              // 000000004418: 0AF5F530
	v_mul_f32_e32 v123, v48, v251                              // 00000000441C: 0AF7F730
	v_mul_f32_e32 v124, v48, v252                              // 000000004420: 0AF9F930
	v_mul_f32_e32 v125, v48, v253                              // 000000004424: 0AFBFB30
	v_mul_f32_e32 v126, v48, v254                              // 000000004428: 0AFDFD30
	v_mul_f32_e32 v127, v48, v255                              // 00000000442C: 0AFFFF30
	v_cvt_pk_fp8_f32 v112, v112, v113                          // 000000004430: D2A20070 0002E370
	v_cvt_pk_fp8_f32 v112, v114, v115 op_sel:[0,0,1]           // 000000004438: D2A24070 0002E772
	v_cvt_pk_fp8_f32 v113, v116, v117                          // 000000004440: D2A20071 0002EB74
	v_cvt_pk_fp8_f32 v113, v118, v119 op_sel:[0,0,1]           // 000000004448: D2A24071 0002EF76
	v_cvt_pk_fp8_f32 v114, v120, v121                          // 000000004450: D2A20072 0002F378
	v_cvt_pk_fp8_f32 v114, v122, v123 op_sel:[0,0,1]           // 000000004458: D2A24072 0002F77A
	v_cvt_pk_fp8_f32 v115, v124, v125                          // 000000004460: D2A20073 0002FB7C
	v_cvt_pk_fp8_f32 v115, v126, v127 op_sel:[0,0,1]           // 000000004468: D2A24073 0002FF7E
	ds_write_b32 v10, v112 offset:25088                        // 000000004470: D81A6200 0000700A
	ds_write_b32 v10, v113 offset:26112                        // 000000004478: D81A6600 0000710A
	ds_write_b32 v10, v114 offset:27136                        // 000000004480: D81A6A00 0000720A
	ds_write_b32 v10, v115 offset:28160                        // 000000004488: D81A6E00 0000730A
	v_add_f32_e32 v208, v208, v176                             // 000000004490: 03A161D0
	v_add_f32_e32 v209, v209, v177                             // 000000004494: 03A363D1
	v_add_f32_e32 v210, v210, v178                             // 000000004498: 03A565D2
	v_add_f32_e32 v211, v211, v179                             // 00000000449C: 03A767D3
	v_add_f32_e32 v212, v212, v180                             // 0000000044A0: 03A969D4
	v_add_f32_e32 v213, v213, v181                             // 0000000044A4: 03AB6BD5
	v_add_f32_e32 v214, v214, v182                             // 0000000044A8: 03AD6DD6
	v_add_f32_e32 v215, v215, v183                             // 0000000044AC: 03AF6FD7
	v_rcp_f32_e32 v44, v48                                     // 0000000044B0: 7E584530
	s_waitcnt lgkmcnt(0)                                       // 0000000044B4: BF8CC07F
	s_barrier                                                  // 0000000044B8: BF8A0000
	ds_read_b64 v[112:113], v9 offset:25088                    // 0000000044BC: D8EC6200 70000009
	ds_read_b64 v[114:115], v9 offset:25216                    // 0000000044C4: D8EC6280 72000009
	ds_read_b64 v[116:117], v9 offset:26112                    // 0000000044CC: D8EC6600 74000009
	ds_read_b64 v[118:119], v9 offset:26240                    // 0000000044D4: D8EC6680 76000009
	ds_read_b64 v[120:121], v9 offset:27136                    // 0000000044DC: D8EC6A00 78000009
	ds_read_b64 v[122:123], v9 offset:27264                    // 0000000044E4: D8EC6A80 7A000009
	ds_read_b64 v[124:125], v9 offset:28160                    // 0000000044EC: D8EC6E00 7C000009
	ds_read_b64 v[126:127], v9 offset:28288                    // 0000000044F4: D8EC6E80 7E000009
	s_waitcnt vmcnt(15)                                        // 0000000044FC: BF8C0F7F
	s_waitcnt lgkmcnt(7)                                       // 000000004500: BF8CC77F
	v_mfma_f32_16x16x32_fp8_fp8 v[176:179], a[64:65], v[112:113], 0// 000000004504: D3F300B0 0A02E140
	buffer_load_dwordx4 a[112:115], v34, s[20:23], 0 offen offset:1024// 00000000450C: E05C1400 80857022
	s_waitcnt lgkmcnt(6)                                       // 000000004514: BF8CC67F
	v_mfma_f32_16x16x32_fp8_fp8 v[176:179], a[66:67], v[114:115], v[176:179]// 000000004518: D3F300B0 0EC2E542
	s_waitcnt lgkmcnt(5)                                       // 000000004520: BF8CC57F
	v_mfma_f32_16x16x32_fp8_fp8 v[176:179], a[68:69], v[116:117], v[176:179]// 000000004524: D3F300B0 0EC2E944
	s_waitcnt lgkmcnt(4)                                       // 00000000452C: BF8CC47F
	v_mfma_f32_16x16x32_fp8_fp8 v[176:179], a[70:71], v[118:119], v[176:179]// 000000004530: D3F300B0 0EC2ED46
	s_waitcnt lgkmcnt(3)                                       // 000000004538: BF8CC37F
	v_mfma_f32_16x16x32_fp8_fp8 v[176:179], a[72:73], v[120:121], v[176:179]// 00000000453C: D3F300B0 0EC2F148
	buffer_load_dwordx4 a[116:119], v35, s[20:23], 0 offen offset:1024// 000000004544: E05C1400 80857423
	s_waitcnt lgkmcnt(2)                                       // 00000000454C: BF8CC27F
	v_mfma_f32_16x16x32_fp8_fp8 v[176:179], a[74:75], v[122:123], v[176:179]// 000000004550: D3F300B0 0EC2F54A
	s_waitcnt lgkmcnt(1)                                       // 000000004558: BF8CC17F
	v_mfma_f32_16x16x32_fp8_fp8 v[176:179], a[76:77], v[124:125], v[176:179]// 00000000455C: D3F300B0 0EC2F94C
	s_waitcnt lgkmcnt(0)                                       // 000000004564: BF8CC07F
	v_mfma_f32_16x16x32_fp8_fp8 v[176:179], a[78:79], v[126:127], v[176:179]// 000000004568: D3F300B0 0EC2FD4E
	v_mfma_f32_16x16x32_fp8_fp8 v[180:183], a[80:81], v[112:113], 0// 000000004570: D3F300B4 0A02E150
	buffer_load_dwordx4 a[120:123], v36, s[20:23], 0 offen offset:1024// 000000004578: E05C1400 80857824
	v_mfma_f32_16x16x32_fp8_fp8 v[180:183], a[82:83], v[114:115], v[180:183]// 000000004580: D3F300B4 0ED2E552
	v_mfma_f32_16x16x32_fp8_fp8 v[180:183], a[84:85], v[116:117], v[180:183]// 000000004588: D3F300B4 0ED2E954
	v_mfma_f32_16x16x32_fp8_fp8 v[180:183], a[86:87], v[118:119], v[180:183]// 000000004590: D3F300B4 0ED2ED56
	v_mfma_f32_16x16x32_fp8_fp8 v[180:183], a[88:89], v[120:121], v[180:183]// 000000004598: D3F300B4 0ED2F158
	buffer_load_dwordx4 a[124:127], v37, s[20:23], 0 offen offset:1024// 0000000045A0: E05C1400 80857C25
	v_mfma_f32_16x16x32_fp8_fp8 v[180:183], a[90:91], v[122:123], v[180:183]// 0000000045A8: D3F300B4 0ED2F55A
	v_mfma_f32_16x16x32_fp8_fp8 v[180:183], a[92:93], v[124:125], v[180:183]// 0000000045B0: D3F300B4 0ED2F95C
	s_lshr_b32 s57, s70, 4                                     // 0000000045B8: 8F398446
	s_add_u32 s57, 48, s57                                     // 0000000045BC: 803939B0
	v_mfma_f32_16x16x32_fp8_fp8 v[180:183], a[94:95], v[126:127], v[180:183]// 0000000045C0: D3F300B4 0ED2FD5E
	s_cmp_ge_u32 s57, s73                                      // 0000000045C8: BF094939
	s_cselect_b32 s56, 0, s56                                  // 0000000045CC: 85383880
	v_add_u32_e32 v1, s56, v1                                  // 0000000045D0: 68020238
	s_addk_i32 s70, 0x100                                      // 0000000045D4: B7460100
	s_cmp_lt_i32 s70, s71                                      // 0000000045D8: BF044746
	s_cbranch_scc0 label_06A7                                  // 0000000045DC: BF84FDAF
	s_waitcnt vmcnt(8) lgkmcnt(0)                              // 0000000045E0: BF8C0078
	v_mul_u32_u24_dpp v64, v16, v54 row_newbcast:0 row_mask:0xf bank_mask:0xf// 0000000045E4: 10806CFA FF015010
	v_mul_u32_u24_dpp v65, v16, v54 row_newbcast:4 row_mask:0xf bank_mask:0xf// 0000000045EC: 10826CFA FF015410
	v_mul_u32_u24_dpp v66, v16, v54 row_newbcast:8 row_mask:0xf bank_mask:0xf// 0000000045F4: 10846CFA FF015810
	v_mul_u32_u24_dpp v67, v16, v54 row_newbcast:12 row_mask:0xf bank_mask:0xf// 0000000045FC: 10866CFA FF015C10
	v_add_u32_e32 v22, v64, v5                                 // 000000004604: 682C0B40
	v_add_u32_e32 v23, v65, v5                                 // 000000004608: 682E0B41
	v_add_u32_e32 v24, v66, v5                                 // 00000000460C: 68300B42
	v_add_u32_e32 v25, v67, v5                                 // 000000004610: 68320B43
	v_mul_u32_u24_dpp v64, v16, v63 quad_perm:[0,0,0,0] row_mask:0xf bank_mask:0xf// 000000004614: 10807EFA FF000010
	v_add_u32_e32 v2, v64, v59                                 // 00000000461C: 68047740
	v_mul_u32_u24_dpp v64, v16, v63 quad_perm:[0,0,0,0] row_mask:0xf bank_mask:0xf// 000000004620: 10807EFA FF000010
	v_add_u32_e32 v55, v64, v60                                // 000000004628: 686E7940
	v_mfma_f32_16x16x32_fp8_fp8 v[112:115], a[32:33], v[80:81], 0// 00000000462C: D3F30070 0A02A120
	buffer_load_dwordx4 a[0:3], v22, s[16:19], 0 offen         // 000000004634: E05C1000 80840016
	v_mfma_f32_16x16x32_fp8_fp8 v[112:115], a[34:35], v[82:83], v[112:115]// 00000000463C: D3F30070 0DC2A522
	v_mfma_f32_16x16x32_fp8_fp8 v[112:115], a[36:37], v[84:85], v[112:115]// 000000004644: D3F30070 0DC2A924
	buffer_load_dword v17, v1, s[24:27], 0 offen               // 00000000464C: E0501000 80061101
	v_mfma_f32_16x16x32_fp8_fp8 v[112:115], a[38:39], v[86:87], v[112:115]// 000000004654: D3F30070 0DC2AD26
	v_mfma_f32_16x16x32_fp8_fp8 v[116:119], a[40:41], v[80:81], 0// 00000000465C: D3F30074 0A02A128
	buffer_load_dwordx4 a[4:7], v22, s[16:19], 0 offen offset:1024// 000000004664: E05C1400 80840416
	v_mfma_f32_16x16x32_fp8_fp8 v[116:119], a[42:43], v[82:83], v[116:119]// 00000000466C: D3F30074 0DD2A52A
	v_mfma_f32_16x16x32_fp8_fp8 v[116:119], a[44:45], v[84:85], v[116:119]// 000000004674: D3F30074 0DD2A92C
	v_mfma_f32_16x16x32_fp8_fp8 v[116:119], a[46:47], v[86:87], v[116:119]// 00000000467C: D3F30074 0DD2AD2E
	v_mfma_f32_16x16x32_fp8_fp8 v[120:123], a[48:49], v[80:81], 0// 000000004684: D3F30078 0A02A130
	buffer_load_dwordx4 a[8:11], v23, s[16:19], 0 offen        // 00000000468C: E05C1000 80840817
	v_mfma_f32_16x16x32_fp8_fp8 v[120:123], a[50:51], v[82:83], v[120:123]// 000000004694: D3F30078 0DE2A532
	v_mfma_f32_16x16x32_fp8_fp8 v[120:123], a[52:53], v[84:85], v[120:123]// 00000000469C: D3F30078 0DE2A934
	v_mfma_f32_16x16x32_fp8_fp8 v[120:123], a[54:55], v[86:87], v[120:123]// 0000000046A4: D3F30078 0DE2AD36
	v_mfma_f32_16x16x32_fp8_fp8 v[124:127], a[56:57], v[80:81], 0// 0000000046AC: D3F3007C 0A02A138
	buffer_load_dwordx4 a[12:15], v23, s[16:19], 0 offen offset:1024// 0000000046B4: E05C1400 80840C17
	v_mfma_f32_16x16x32_fp8_fp8 v[124:127], a[58:59], v[82:83], v[124:127]// 0000000046BC: D3F3007C 0DF2A53A
	v_mfma_f32_16x16x32_fp8_fp8 v[124:127], a[60:61], v[84:85], v[124:127]// 0000000046C4: D3F3007C 0DF2A93C
	v_mfma_f32_16x16x32_fp8_fp8 v[124:127], a[62:63], v[86:87], v[124:127]// 0000000046CC: D3F3007C 0DF2AD3E
	buffer_load_dword v42, v2, s[32:35], 0 offen               // 0000000046D4: E0501000 80082A02
	v_mov_b32_dpp v64, v43 row_shr:4 row_mask:0xf bank_mask:0xf// 0000000046DC: 7E8002FA FF01142B
	v_mov_b32_dpp v65, v43 row_shl:4 row_mask:0xf bank_mask:0xf// 0000000046E4: 7E8202FA FF01042B
	v_cndmask_b32_e64 v248, v43, v64, s[44:45]                 // 0000000046EC: D10000F8 00B2812B
	v_cndmask_b32_e64 v249, v65, v43, s[44:45]                 // 0000000046F4: D10000F9 00B25741
	v_mov_b32_dpp v64, v248 row_shr:8 row_mask:0xf bank_mask:0xf// 0000000046FC: 7E8002FA FF0118F8
	v_mov_b32_dpp v65, v248 row_shl:8 row_mask:0xf bank_mask:0xf// 000000004704: 7E8202FA FF0108F8
	v_mov_b32_dpp v66, v249 row_shr:8 row_mask:0xf bank_mask:0xf// 00000000470C: 7E8402FA FF0118F9
	v_mov_b32_dpp v67, v249 row_shl:8 row_mask:0xf bank_mask:0xf// 000000004714: 7E8602FA FF0108F9
	v_mov_b32_e32 v68, v248                                    // 00000000471C: 7E8803F8
	v_mov_b32_e32 v69, v249                                    // 000000004720: 7E8A03F9
	v_cndmask_b32_e64 v248, v68, v64, s[42:43]                 // 000000004724: D10000F8 00AA8144
	v_cndmask_b32_e64 v250, v68, v65, s[78:79]                 // 00000000472C: D10000FA 013A8344
	v_cndmask_b32_e64 v249, v69, v66, s[42:43]                 // 000000004734: D10000F9 00AA8545
	v_cndmask_b32_e64 v251, v69, v67, s[78:79]                 // 00000000473C: D10000FB 013A8745
	v_mov_b32_dpp v64, v58 row_shr:4 row_mask:0xf bank_mask:0xf// 000000004744: 7E8002FA FF01143A
	v_mov_b32_dpp v65, v58 row_shl:4 row_mask:0xf bank_mask:0xf// 00000000474C: 7E8202FA FF01043A
	v_cndmask_b32_e64 v252, v58, v64, s[44:45]                 // 000000004754: D10000FC 00B2813A
	v_cndmask_b32_e64 v253, v65, v58, s[44:45]                 // 00000000475C: D10000FD 00B27541
	v_mov_b32_dpp v64, v252 row_shr:8 row_mask:0xf bank_mask:0xf// 000000004764: 7E8002FA FF0118FC
	v_mov_b32_dpp v65, v252 row_shl:8 row_mask:0xf bank_mask:0xf// 00000000476C: 7E8202FA FF0108FC
	v_mov_b32_dpp v66, v253 row_shr:8 row_mask:0xf bank_mask:0xf// 000000004774: 7E8402FA FF0118FD
	v_mov_b32_dpp v67, v253 row_shl:8 row_mask:0xf bank_mask:0xf// 00000000477C: 7E8602FA FF0108FD
	v_mov_b32_e32 v68, v252                                    // 000000004784: 7E8803FC
	v_mov_b32_e32 v69, v253                                    // 000000004788: 7E8A03FD
	v_cndmask_b32_e64 v252, v68, v64, s[42:43]                 // 00000000478C: D10000FC 00AA8144
	v_cndmask_b32_e64 v254, v68, v65, s[78:79]                 // 000000004794: D10000FE 013A8344
	v_cndmask_b32_e64 v253, v69, v66, s[42:43]                 // 00000000479C: D10000FD 00AA8545
	v_cndmask_b32_e64 v255, v69, v67, s[78:79]                 // 0000000047A4: D10000FF 013A8745
	buffer_load_dword v57, v55, s[36:39], 0 offen              // 0000000047AC: E0501000 80093937
	v_mul_f32_e32 v112, v18, v112                              // 0000000047B4: 0AE0E112
	v_mul_f32_e32 v113, v18, v113                              // 0000000047B8: 0AE2E312
	v_mul_f32_e32 v114, v18, v114                              // 0000000047BC: 0AE4E512
	v_mul_f32_e32 v115, v18, v115                              // 0000000047C0: 0AE6E712
	v_mul_f32_e32 v116, v18, v116                              // 0000000047C4: 0AE8E912
	v_mul_f32_e32 v117, v18, v117                              // 0000000047C8: 0AEAEB12
	v_mul_f32_e32 v118, v18, v118                              // 0000000047CC: 0AECED12
	v_mul_f32_e32 v119, v18, v119                              // 0000000047D0: 0AEEEF12
	v_mul_f32_e32 v120, v18, v120                              // 0000000047D4: 0AF0F112
	v_mul_f32_e32 v121, v18, v121                              // 0000000047D8: 0AF2F312
	v_mul_f32_e32 v122, v18, v122                              // 0000000047DC: 0AF4F512
	v_mul_f32_e32 v123, v18, v123                              // 0000000047E0: 0AF6F712
	v_mul_f32_e32 v124, v18, v124                              // 0000000047E4: 0AF8F912
	v_mul_f32_e32 v125, v18, v125                              // 0000000047E8: 0AFAFB12
	v_mul_f32_e32 v126, v18, v126                              // 0000000047EC: 0AFCFD12
	v_mul_f32_e32 v127, v18, v127                              // 0000000047F0: 0AFEFF12
	buffer_load_dwordx4 a[16:19], v24, s[16:19], 0 offen       // 0000000047F4: E05C1000 80841018
	v_mul_f32_dpp v112, v248, v112 quad_perm:[0,0,0,0] row_mask:0xf bank_mask:0xf// 0000000047FC: 0AE0E0FA FF0000F8
	v_mul_f32_dpp v113, v248, v113 quad_perm:[1,1,1,1] row_mask:0xf bank_mask:0xf// 000000004804: 0AE2E2FA FF0055F8
	v_mul_f32_dpp v114, v248, v114 quad_perm:[2,2,2,2] row_mask:0xf bank_mask:0xf// 00000000480C: 0AE4E4FA FF00AAF8
	v_mul_f32_dpp v115, v248, v115 quad_perm:[3,3,3,3] row_mask:0xf bank_mask:0xf// 000000004814: 0AE6E6FA FF00FFF8
	v_mul_f32_dpp v116, v249, v116 quad_perm:[0,0,0,0] row_mask:0xf bank_mask:0xf// 00000000481C: 0AE8E8FA FF0000F9
	v_mul_f32_dpp v117, v249, v117 quad_perm:[1,1,1,1] row_mask:0xf bank_mask:0xf// 000000004824: 0AEAEAFA FF0055F9
	v_mul_f32_dpp v118, v249, v118 quad_perm:[2,2,2,2] row_mask:0xf bank_mask:0xf// 00000000482C: 0AECECFA FF00AAF9
	v_mul_f32_dpp v119, v249, v119 quad_perm:[3,3,3,3] row_mask:0xf bank_mask:0xf// 000000004834: 0AEEEEFA FF00FFF9
	v_mul_f32_dpp v120, v250, v120 quad_perm:[0,0,0,0] row_mask:0xf bank_mask:0xf// 00000000483C: 0AF0F0FA FF0000FA
	v_mul_f32_dpp v121, v250, v121 quad_perm:[1,1,1,1] row_mask:0xf bank_mask:0xf// 000000004844: 0AF2F2FA FF0055FA
	v_mul_f32_dpp v122, v250, v122 quad_perm:[2,2,2,2] row_mask:0xf bank_mask:0xf// 00000000484C: 0AF4F4FA FF00AAFA
	v_mul_f32_dpp v123, v250, v123 quad_perm:[3,3,3,3] row_mask:0xf bank_mask:0xf// 000000004854: 0AF6F6FA FF00FFFA
	v_mul_f32_dpp v124, v251, v124 quad_perm:[0,0,0,0] row_mask:0xf bank_mask:0xf// 00000000485C: 0AF8F8FA FF0000FB
	v_mul_f32_dpp v125, v251, v125 quad_perm:[1,1,1,1] row_mask:0xf bank_mask:0xf// 000000004864: 0AFAFAFA FF0055FB
	v_mul_f32_dpp v126, v251, v126 quad_perm:[2,2,2,2] row_mask:0xf bank_mask:0xf// 00000000486C: 0AFCFCFA FF00AAFB
	v_mul_f32_dpp v127, v251, v127 quad_perm:[3,3,3,3] row_mask:0xf bank_mask:0xf// 000000004874: 0AFEFEFA FF00FFFB
	buffer_load_dwordx4 a[20:23], v24, s[16:19], 0 offen offset:1024// 00000000487C: E05C1400 80841418
	v_mov_b32_e32 v48, v112                                    // 000000004884: 7E600370
	v_max3_f32 v48, v112, v113, v48                            // 000000004888: D1D30030 04C2E370
	v_max3_f32 v48, v114, v115, v48                            // 000000004890: D1D30030 04C2E772
	v_max3_f32 v48, v116, v117, v48                            // 000000004898: D1D30030 04C2EB74
	v_max3_f32 v48, v118, v119, v48                            // 0000000048A0: D1D30030 04C2EF76
	v_max3_f32 v48, v120, v121, v48                            // 0000000048A8: D1D30030 04C2F378
	v_max3_f32 v48, v122, v123, v48                            // 0000000048B0: D1D30030 04C2F77A
	v_max3_f32 v48, v124, v125, v48                            // 0000000048B8: D1D30030 04C2FB7C
	v_max3_f32 v48, v126, v127, v48                            // 0000000048C0: D1D30030 04C2FF7E
	ds_write_b32 v8, v48 offset:16896                          // 0000000048C8: D81A4200 00003008
	buffer_load_dwordx4 a[24:27], v25, s[16:19], 0 offen       // 0000000048D0: E05C1000 80841819
	v_mul_u32_u24_dpp v64, v16, v54 row_newbcast:1 row_mask:0xf bank_mask:0xf// 0000000048D8: 10806CFA FF015110
	v_mul_u32_u24_dpp v65, v16, v54 row_newbcast:5 row_mask:0xf bank_mask:0xf// 0000000048E0: 10826CFA FF015510
	v_mul_u32_u24_dpp v66, v16, v54 row_newbcast:9 row_mask:0xf bank_mask:0xf// 0000000048E8: 10846CFA FF015910
	v_mul_u32_u24_dpp v67, v16, v54 row_newbcast:13 row_mask:0xf bank_mask:0xf// 0000000048F0: 10866CFA FF015D10
	v_add_u32_e32 v30, v64, v6                                 // 0000000048F8: 683C0D40
	v_add_u32_e32 v31, v65, v6                                 // 0000000048FC: 683E0D41
	v_add_u32_e32 v32, v66, v6                                 // 000000004900: 68400D42
	v_add_u32_e32 v33, v67, v6                                 // 000000004904: 68420D43
	v_mul_f32_e32 v208, v49, v208                              // 000000004908: 0BA1A131
	v_mul_f32_e32 v209, v49, v209                              // 00000000490C: 0BA3A331
	v_mul_f32_e32 v210, v49, v210                              // 000000004910: 0BA5A531
	v_mul_f32_e32 v211, v49, v211                              // 000000004914: 0BA7A731
	v_mul_f32_e32 v212, v49, v212                              // 000000004918: 0BA9A931
	v_mul_f32_e32 v213, v49, v213                              // 00000000491C: 0BABAB31
	v_mul_f32_e32 v214, v49, v214                              // 000000004920: 0BADAD31
	v_mul_f32_e32 v215, v49, v215                              // 000000004924: 0BAFAF31
	s_waitcnt lgkmcnt(0)                                       // 000000004928: BF8CC07F
	s_barrier                                                  // 00000000492C: BF8A0000
	ds_read_b32 v64, v7 offset:16896                           // 000000004930: D86C4200 40000007
	ds_read_b32 v65, v7 offset:16960                           // 000000004938: D86C4240 41000007
	ds_read_b32 v66, v7 offset:17024                           // 000000004940: D86C4280 42000007
	ds_read_b32 v67, v7 offset:17088                           // 000000004948: D86C42C0 43000007
	ds_read_b32 v68, v7 offset:17152                           // 000000004950: D86C4300 44000007
	ds_read_b32 v69, v7 offset:17216                           // 000000004958: D86C4340 45000007
	ds_read_b32 v70, v7 offset:17280                           // 000000004960: D86C4380 46000007
	ds_read_b32 v71, v7 offset:17344                           // 000000004968: D86C43C0 47000007
	ds_read_b32 v72, v7 offset:17408                           // 000000004970: D86C4400 48000007
	ds_read_b32 v73, v7 offset:17472                           // 000000004978: D86C4440 49000007
	ds_read_b32 v74, v7 offset:17536                           // 000000004980: D86C4480 4A000007
	ds_read_b32 v75, v7 offset:17600                           // 000000004988: D86C44C0 4B000007
	ds_read_b32 v76, v7 offset:17664                           // 000000004990: D86C4500 4C000007
	ds_read_b32 v77, v7 offset:17728                           // 000000004998: D86C4540 4D000007
	ds_read_b32 v78, v7 offset:17792                           // 0000000049A0: D86C4580 4E000007
	ds_read_b32 v79, v7 offset:17856                           // 0000000049A8: D86C45C0 4F000007
	buffer_load_dwordx4 a[28:31], v25, s[16:19], 0 offen offset:1024// 0000000049B0: E05C1400 80841C19
	v_mul_f32_e32 v176, v44, v176                              // 0000000049B8: 0B61612C
	v_mul_f32_e32 v177, v44, v177                              // 0000000049BC: 0B63632C
	v_mul_f32_e32 v178, v44, v178                              // 0000000049C0: 0B65652C
	v_mul_f32_e32 v179, v44, v179                              // 0000000049C4: 0B67672C
	v_mul_f32_e32 v180, v44, v180                              // 0000000049C8: 0B69692C
	v_mul_f32_e32 v181, v44, v181                              // 0000000049CC: 0B6B6B2C
	v_mul_f32_e32 v182, v44, v182                              // 0000000049D0: 0B6D6D2C
	v_mul_f32_e32 v183, v44, v183                              // 0000000049D4: 0B6F6F2C
	s_waitcnt lgkmcnt(0)                                       // 0000000049D8: BF8CC07F
	v_max3_f32 v48, v64, v65, v48                              // 0000000049DC: D1D30030 04C28340
	v_max3_f32 v48, v66, v67, v48                              // 0000000049E4: D1D30030 04C28742
	v_max3_f32 v48, v68, v69, v48                              // 0000000049EC: D1D30030 04C28B44
	v_max3_f32 v48, v70, v71, v48                              // 0000000049F4: D1D30030 04C28F46
	v_max3_f32 v48, v72, v73, v48                              // 0000000049FC: D1D30030 04C29348
	v_max3_f32 v48, v74, v75, v48                              // 000000004A04: D1D30030 04C2974A
	v_max3_f32 v48, v76, v77, v48                              // 000000004A0C: D1D30030 04C29B4C
	v_max3_f32 v48, v78, v79, v48                              // 000000004A14: D1D30030 04C29F4E
	buffer_load_dwordx4 a[64:67], v30, s[20:23], 0 offen       // 000000004A1C: E05C1000 8085401E
	v_mov_b32_e32 v64, 0xff800000                              // 000000004A24: 7E8002FF FF800000
	v_cmp_eq_u32_e64 s[40:41], v64, v11                        // 000000004A2C: D0CA0028 00021740
	s_nop 1                                                    // 000000004A34: BF800001
	v_max_f32_e32 v15, v48, v11                                // 000000004A38: 161E1730
	v_mul_f32_e32 v53, s64, v15                                // 000000004A3C: 0A6A1E40
	v_fma_f32 v112, v112, s64, -v53                            // 000000004A40: D1CB0070 84D48170
	v_fma_f32 v113, v113, s64, -v53                            // 000000004A48: D1CB0071 84D48171
	v_fma_f32 v114, v114, s64, -v53                            // 000000004A50: D1CB0072 84D48172
	v_fma_f32 v115, v115, s64, -v53                            // 000000004A58: D1CB0073 84D48173
	v_fma_f32 v116, v116, s64, -v53                            // 000000004A60: D1CB0074 84D48174
	v_fma_f32 v117, v117, s64, -v53                            // 000000004A68: D1CB0075 84D48175
	v_fma_f32 v118, v118, s64, -v53                            // 000000004A70: D1CB0076 84D48176
	v_fma_f32 v119, v119, s64, -v53                            // 000000004A78: D1CB0077 84D48177
	v_fma_f32 v120, v120, s64, -v53                            // 000000004A80: D1CB0078 84D48178
	v_fma_f32 v121, v121, s64, -v53                            // 000000004A88: D1CB0079 84D48179
	v_fma_f32 v122, v122, s64, -v53                            // 000000004A90: D1CB007A 84D4817A
	v_fma_f32 v123, v123, s64, -v53                            // 000000004A98: D1CB007B 84D4817B
	v_fma_f32 v124, v124, s64, -v53                            // 000000004AA0: D1CB007C 84D4817C
	v_fma_f32 v125, v125, s64, -v53                            // 000000004AA8: D1CB007D 84D4817D
	v_fma_f32 v126, v126, s64, -v53                            // 000000004AB0: D1CB007E 84D4817E
	v_fma_f32 v127, v127, s64, -v53                            // 000000004AB8: D1CB007F 84D4817F
	buffer_load_dwordx4 a[68:71], v31, s[20:23], 0 offen       // 000000004AC0: E05C1000 8085441F
	v_exp_f32_e32 v112, v112                                   // 000000004AC8: 7EE04170
	v_exp_f32_e32 v113, v113                                   // 000000004ACC: 7EE24171
	v_exp_f32_e32 v114, v114                                   // 000000004AD0: 7EE44172
	v_exp_f32_e32 v115, v115                                   // 000000004AD4: 7EE64173
	v_exp_f32_e32 v116, v116                                   // 000000004AD8: 7EE84174
	v_exp_f32_e32 v117, v117                                   // 000000004ADC: 7EEA4175
	v_exp_f32_e32 v118, v118                                   // 000000004AE0: 7EEC4176
	v_exp_f32_e32 v119, v119                                   // 000000004AE4: 7EEE4177
	v_exp_f32_e32 v120, v120                                   // 000000004AE8: 7EF04178
	v_exp_f32_e32 v121, v121                                   // 000000004AEC: 7EF24179
	v_exp_f32_e32 v122, v122                                   // 000000004AF0: 7EF4417A
	v_exp_f32_e32 v123, v123                                   // 000000004AF4: 7EF6417B
	v_exp_f32_e32 v124, v124                                   // 000000004AF8: 7EF8417C
	v_exp_f32_e32 v125, v125                                   // 000000004AFC: 7EFA417D
	v_exp_f32_e32 v126, v126                                   // 000000004B00: 7EFC417E
	v_exp_f32_e32 v127, v127                                   // 000000004B04: 7EFE417F
	buffer_load_dwordx4 a[72:75], v32, s[20:23], 0 offen       // 000000004B08: E05C1000 80854820
	v_mul_f32_dpp v240, v252, v112 quad_perm:[0,0,0,0] row_mask:0xf bank_mask:0xf// 000000004B10: 0BE0E0FA FF0000FC
	v_mul_f32_dpp v241, v252, v113 quad_perm:[1,1,1,1] row_mask:0xf bank_mask:0xf// 000000004B18: 0BE2E2FA FF0055FC
	v_mul_f32_dpp v242, v252, v114 quad_perm:[2,2,2,2] row_mask:0xf bank_mask:0xf// 000000004B20: 0BE4E4FA FF00AAFC
	v_mul_f32_dpp v243, v252, v115 quad_perm:[3,3,3,3] row_mask:0xf bank_mask:0xf// 000000004B28: 0BE6E6FA FF00FFFC
	v_mul_f32_dpp v244, v253, v116 quad_perm:[0,0,0,0] row_mask:0xf bank_mask:0xf// 000000004B30: 0BE8E8FA FF0000FD
	v_mul_f32_dpp v245, v253, v117 quad_perm:[1,1,1,1] row_mask:0xf bank_mask:0xf// 000000004B38: 0BEAEAFA FF0055FD
	v_mul_f32_dpp v246, v253, v118 quad_perm:[2,2,2,2] row_mask:0xf bank_mask:0xf// 000000004B40: 0BECECFA FF00AAFD
	v_mul_f32_dpp v247, v253, v119 quad_perm:[3,3,3,3] row_mask:0xf bank_mask:0xf// 000000004B48: 0BEEEEFA FF00FFFD
	v_mul_f32_dpp v248, v254, v120 quad_perm:[0,0,0,0] row_mask:0xf bank_mask:0xf// 000000004B50: 0BF0F0FA FF0000FE
	v_mul_f32_dpp v249, v254, v121 quad_perm:[1,1,1,1] row_mask:0xf bank_mask:0xf// 000000004B58: 0BF2F2FA FF0055FE
	v_mul_f32_dpp v250, v254, v122 quad_perm:[2,2,2,2] row_mask:0xf bank_mask:0xf// 000000004B60: 0BF4F4FA FF00AAFE
	v_mul_f32_dpp v251, v254, v123 quad_perm:[3,3,3,3] row_mask:0xf bank_mask:0xf// 000000004B68: 0BF6F6FA FF00FFFE
	v_mul_f32_dpp v252, v255, v124 quad_perm:[0,0,0,0] row_mask:0xf bank_mask:0xf// 000000004B70: 0BF8F8FA FF0000FF
	v_mul_f32_dpp v253, v255, v125 quad_perm:[1,1,1,1] row_mask:0xf bank_mask:0xf// 000000004B78: 0BFAFAFA FF0055FF
	v_mul_f32_dpp v254, v255, v126 quad_perm:[2,2,2,2] row_mask:0xf bank_mask:0xf// 000000004B80: 0BFCFCFA FF00AAFF
	v_mul_f32_dpp v255, v255, v127 quad_perm:[3,3,3,3] row_mask:0xf bank_mask:0xf// 000000004B88: 0BFEFEFA FF00FFFF
	v_mov_b32_e32 v48, 0x358637bd                              // 000000004B90: 7E6002FF 358637BD
	v_max3_f32 v48, |v240|, |v241|, v48                        // 000000004B98: D1D30330 04C3E3F0
	v_max3_f32 v48, |v242|, |v243|, v48                        // 000000004BA0: D1D30330 04C3E7F2
	v_max3_f32 v48, |v244|, |v245|, v48                        // 000000004BA8: D1D30330 04C3EBF4
	v_max3_f32 v48, |v246|, |v247|, v48                        // 000000004BB0: D1D30330 04C3EFF6
	v_max3_f32 v48, |v248|, |v249|, v48                        // 000000004BB8: D1D30330 04C3F3F8
	v_max3_f32 v48, |v250|, |v251|, v48                        // 000000004BC0: D1D30330 04C3F7FA
	v_max3_f32 v48, |v252|, |v253|, v48                        // 000000004BC8: D1D30330 04C3FBFC
	v_max3_f32 v48, |v254|, |v255|, v48                        // 000000004BD0: D1D30330 04C3FFFE
	buffer_load_dwordx4 a[76:79], v33, s[20:23], 0 offen       // 000000004BD8: E05C1000 80854C21
	ds_write_b32 v8, v48 offset:20992                          // 000000004BE0: D81A5200 00003008
	v_sub_f32_e32 v49, v11, v15                                // 000000004BE8: 04621F0B
	v_cndmask_b32_e64 v49, v49, 0, s[40:41]                    // 000000004BEC: D1000031 00A10131
	v_mov_b32_e32 v11, v15                                     // 000000004BF4: 7E16030F
	v_mul_f32_e32 v49, s64, v49                                // 000000004BF8: 0A626240
	v_exp_f32_e32 v49, v49                                     // 000000004BFC: 7E624131
	s_waitcnt lgkmcnt(0)                                       // 000000004C00: BF8CC07F
	s_barrier                                                  // 000000004C04: BF8A0000
	ds_read_b32 v64, v7 offset:20992                           // 000000004C08: D86C5200 40000007
	ds_read_b32 v65, v7 offset:21056                           // 000000004C10: D86C5240 41000007
	ds_read_b32 v66, v7 offset:21120                           // 000000004C18: D86C5280 42000007
	ds_read_b32 v67, v7 offset:21184                           // 000000004C20: D86C52C0 43000007
	ds_read_b32 v68, v7 offset:21248                           // 000000004C28: D86C5300 44000007
	ds_read_b32 v69, v7 offset:21312                           // 000000004C30: D86C5340 45000007
	ds_read_b32 v70, v7 offset:21376                           // 000000004C38: D86C5380 46000007
	ds_read_b32 v71, v7 offset:21440                           // 000000004C40: D86C53C0 47000007
	ds_read_b32 v72, v7 offset:21504                           // 000000004C48: D86C5400 48000007
	ds_read_b32 v73, v7 offset:21568                           // 000000004C50: D86C5440 49000007
	ds_read_b32 v74, v7 offset:21632                           // 000000004C58: D86C5480 4A000007
	ds_read_b32 v75, v7 offset:21696                           // 000000004C60: D86C54C0 4B000007
	ds_read_b32 v76, v7 offset:21760                           // 000000004C68: D86C5500 4C000007
	ds_read_b32 v77, v7 offset:21824                           // 000000004C70: D86C5540 4D000007
	ds_read_b32 v78, v7 offset:21888                           // 000000004C78: D86C5580 4E000007
	ds_read_b32 v79, v7 offset:21952                           // 000000004C80: D86C55C0 4F000007
	v_mul_f32_e32 v38, v49, v38                                // 000000004C88: 0A4C4D31
	v_mov_b32_e32 v15, v112                                    // 000000004C8C: 7E1E0370
	v_add_f32_e32 v15, v113, v15                               // 000000004C90: 021E1F71
	v_add_f32_e32 v15, v114, v15                               // 000000004C94: 021E1F72
	v_add_f32_e32 v15, v115, v15                               // 000000004C98: 021E1F73
	v_add_f32_e32 v15, v116, v15                               // 000000004C9C: 021E1F74
	v_add_f32_e32 v15, v117, v15                               // 000000004CA0: 021E1F75
	v_add_f32_e32 v15, v118, v15                               // 000000004CA4: 021E1F76
	v_add_f32_e32 v15, v119, v15                               // 000000004CA8: 021E1F77
	v_add_f32_e32 v15, v120, v15                               // 000000004CAC: 021E1F78
	v_add_f32_e32 v15, v121, v15                               // 000000004CB0: 021E1F79
	v_add_f32_e32 v15, v122, v15                               // 000000004CB4: 021E1F7A
	v_add_f32_e32 v15, v123, v15                               // 000000004CB8: 021E1F7B
	v_add_f32_e32 v15, v124, v15                               // 000000004CBC: 021E1F7C
	v_add_f32_e32 v15, v125, v15                               // 000000004CC0: 021E1F7D
	v_add_f32_e32 v15, v126, v15                               // 000000004CC4: 021E1F7E
	v_add_f32_e32 v15, v127, v15                               // 000000004CC8: 021E1F7F
	v_add_f32_e32 v38, v15, v38                                // 000000004CCC: 024C4D0F
	s_waitcnt lgkmcnt(0)                                       // 000000004CD0: BF8CC07F
	v_max3_f32 v48, |v64|, |v65|, v48                          // 000000004CD4: D1D30330 04C28340
	v_max3_f32 v48, |v66|, |v67|, v48                          // 000000004CDC: D1D30330 04C28742
	v_max3_f32 v48, |v68|, |v69|, v48                          // 000000004CE4: D1D30330 04C28B44
	v_max3_f32 v48, |v70|, |v71|, v48                          // 000000004CEC: D1D30330 04C28F46
	v_max3_f32 v48, |v72|, |v73|, v48                          // 000000004CF4: D1D30330 04C29348
	v_max3_f32 v48, |v74|, |v75|, v48                          // 000000004CFC: D1D30330 04C2974A
	v_max3_f32 v48, |v76|, |v77|, v48                          // 000000004D04: D1D30330 04C29B4C
	v_max3_f32 v48, |v78|, |v79|, v48                          // 000000004D0C: D1D30330 04C29F4E
	s_nop 2                                                    // 000000004D14: BF800002
	v_rcp_f32_e32 v48, v48                                     // 000000004D18: 7E604530
	s_nop 1                                                    // 000000004D1C: BF800001
	v_mul_f32_e32 v48, 0x43e00000, v48                         // 000000004D20: 0A6060FF 43E00000
	v_mul_f32_e32 v112, v48, v240                              // 000000004D28: 0AE1E130
	v_mul_f32_e32 v113, v48, v241                              // 000000004D2C: 0AE3E330
	v_mul_f32_e32 v114, v48, v242                              // 000000004D30: 0AE5E530
	v_mul_f32_e32 v115, v48, v243                              // 000000004D34: 0AE7E730
	v_mul_f32_e32 v116, v48, v244                              // 000000004D38: 0AE9E930
	v_mul_f32_e32 v117, v48, v245                              // 000000004D3C: 0AEBEB30
	v_mul_f32_e32 v118, v48, v246                              // 000000004D40: 0AEDED30
	v_mul_f32_e32 v119, v48, v247                              // 000000004D44: 0AEFEF30
	v_mul_f32_e32 v120, v48, v248                              // 000000004D48: 0AF1F130
	v_mul_f32_e32 v121, v48, v249                              // 000000004D4C: 0AF3F330
	v_mul_f32_e32 v122, v48, v250                              // 000000004D50: 0AF5F530
	v_mul_f32_e32 v123, v48, v251                              // 000000004D54: 0AF7F730
	v_mul_f32_e32 v124, v48, v252                              // 000000004D58: 0AF9F930
	v_mul_f32_e32 v125, v48, v253                              // 000000004D5C: 0AFBFB30
	v_mul_f32_e32 v126, v48, v254                              // 000000004D60: 0AFDFD30
	v_mul_f32_e32 v127, v48, v255                              // 000000004D64: 0AFFFF30
	v_cvt_pk_fp8_f32 v112, v112, v113                          // 000000004D68: D2A20070 0002E370
	v_cvt_pk_fp8_f32 v112, v114, v115 op_sel:[0,0,1]           // 000000004D70: D2A24070 0002E772
	v_cvt_pk_fp8_f32 v113, v116, v117                          // 000000004D78: D2A20071 0002EB74
	v_cvt_pk_fp8_f32 v113, v118, v119 op_sel:[0,0,1]           // 000000004D80: D2A24071 0002EF76
	v_cvt_pk_fp8_f32 v114, v120, v121                          // 000000004D88: D2A20072 0002F378
	v_cvt_pk_fp8_f32 v114, v122, v123 op_sel:[0,0,1]           // 000000004D90: D2A24072 0002F77A
	v_cvt_pk_fp8_f32 v115, v124, v125                          // 000000004D98: D2A20073 0002FB7C
	v_cvt_pk_fp8_f32 v115, v126, v127 op_sel:[0,0,1]           // 000000004DA0: D2A24073 0002FF7E
	ds_write_b32 v10, v112 offset:25088                        // 000000004DA8: D81A6200 0000700A
	ds_write_b32 v10, v113 offset:26112                        // 000000004DB0: D81A6600 0000710A
	ds_write_b32 v10, v114 offset:27136                        // 000000004DB8: D81A6A00 0000720A
	ds_write_b32 v10, v115 offset:28160                        // 000000004DC0: D81A6E00 0000730A
	v_add_f32_e32 v208, v208, v176                             // 000000004DC8: 03A161D0
	v_add_f32_e32 v209, v209, v177                             // 000000004DCC: 03A363D1
	v_add_f32_e32 v210, v210, v178                             // 000000004DD0: 03A565D2
	v_add_f32_e32 v211, v211, v179                             // 000000004DD4: 03A767D3
	v_add_f32_e32 v212, v212, v180                             // 000000004DD8: 03A969D4
	v_add_f32_e32 v213, v213, v181                             // 000000004DDC: 03AB6BD5
	v_add_f32_e32 v214, v214, v182                             // 000000004DE0: 03AD6DD6
	v_add_f32_e32 v215, v215, v183                             // 000000004DE4: 03AF6FD7
	v_rcp_f32_e32 v44, v48                                     // 000000004DE8: 7E584530
	s_waitcnt lgkmcnt(0)                                       // 000000004DEC: BF8CC07F
	s_barrier                                                  // 000000004DF0: BF8A0000
	ds_read_b64 v[112:113], v9 offset:25088                    // 000000004DF4: D8EC6200 70000009
	ds_read_b64 v[114:115], v9 offset:25216                    // 000000004DFC: D8EC6280 72000009
	ds_read_b64 v[116:117], v9 offset:26112                    // 000000004E04: D8EC6600 74000009
	ds_read_b64 v[118:119], v9 offset:26240                    // 000000004E0C: D8EC6680 76000009
	ds_read_b64 v[120:121], v9 offset:27136                    // 000000004E14: D8EC6A00 78000009
	ds_read_b64 v[122:123], v9 offset:27264                    // 000000004E1C: D8EC6A80 7A000009
	ds_read_b64 v[124:125], v9 offset:28160                    // 000000004E24: D8EC6E00 7C000009
	ds_read_b64 v[126:127], v9 offset:28288                    // 000000004E2C: D8EC6E80 7E000009
	s_waitcnt vmcnt(15)                                        // 000000004E34: BF8C0F7F
	s_waitcnt lgkmcnt(7)                                       // 000000004E38: BF8CC77F
	v_mfma_f32_16x16x32_fp8_fp8 v[176:179], a[96:97], v[112:113], 0// 000000004E3C: D3F300B0 0A02E160
	buffer_load_dwordx4 a[80:83], v30, s[20:23], 0 offen offset:1024// 000000004E44: E05C1400 8085501E
	s_waitcnt lgkmcnt(6)                                       // 000000004E4C: BF8CC67F
	v_mfma_f32_16x16x32_fp8_fp8 v[176:179], a[98:99], v[114:115], v[176:179]// 000000004E50: D3F300B0 0EC2E562
	s_waitcnt lgkmcnt(5)                                       // 000000004E58: BF8CC57F
	v_mfma_f32_16x16x32_fp8_fp8 v[176:179], a[100:101], v[116:117], v[176:179]// 000000004E5C: D3F300B0 0EC2E964
	s_waitcnt lgkmcnt(4)                                       // 000000004E64: BF8CC47F
	v_mfma_f32_16x16x32_fp8_fp8 v[176:179], a[102:103], v[118:119], v[176:179]// 000000004E68: D3F300B0 0EC2ED66
	s_waitcnt lgkmcnt(3)                                       // 000000004E70: BF8CC37F
	v_mfma_f32_16x16x32_fp8_fp8 v[176:179], a[104:105], v[120:121], v[176:179]// 000000004E74: D3F300B0 0EC2F168
	buffer_load_dwordx4 a[84:87], v31, s[20:23], 0 offen offset:1024// 000000004E7C: E05C1400 8085541F
	s_waitcnt lgkmcnt(2)                                       // 000000004E84: BF8CC27F
	v_mfma_f32_16x16x32_fp8_fp8 v[176:179], a[106:107], v[122:123], v[176:179]// 000000004E88: D3F300B0 0EC2F56A
	s_waitcnt lgkmcnt(1)                                       // 000000004E90: BF8CC17F
	v_mfma_f32_16x16x32_fp8_fp8 v[176:179], a[108:109], v[124:125], v[176:179]// 000000004E94: D3F300B0 0EC2F96C
	s_waitcnt lgkmcnt(0)                                       // 000000004E9C: BF8CC07F
	v_mfma_f32_16x16x32_fp8_fp8 v[176:179], a[110:111], v[126:127], v[176:179]// 000000004EA0: D3F300B0 0EC2FD6E
	v_mfma_f32_16x16x32_fp8_fp8 v[180:183], a[112:113], v[112:113], 0// 000000004EA8: D3F300B4 0A02E170
	buffer_load_dwordx4 a[88:91], v32, s[20:23], 0 offen offset:1024// 000000004EB0: E05C1400 80855820
	v_mfma_f32_16x16x32_fp8_fp8 v[180:183], a[114:115], v[114:115], v[180:183]// 000000004EB8: D3F300B4 0ED2E572
	v_mfma_f32_16x16x32_fp8_fp8 v[180:183], a[116:117], v[116:117], v[180:183]// 000000004EC0: D3F300B4 0ED2E974
	v_mfma_f32_16x16x32_fp8_fp8 v[180:183], a[118:119], v[118:119], v[180:183]// 000000004EC8: D3F300B4 0ED2ED76
	v_mfma_f32_16x16x32_fp8_fp8 v[180:183], a[120:121], v[120:121], v[180:183]// 000000004ED0: D3F300B4 0ED2F178
	buffer_load_dwordx4 a[92:95], v33, s[20:23], 0 offen offset:1024// 000000004ED8: E05C1400 80855C21
	v_mfma_f32_16x16x32_fp8_fp8 v[180:183], a[122:123], v[122:123], v[180:183]// 000000004EE0: D3F300B4 0ED2F57A
	v_mfma_f32_16x16x32_fp8_fp8 v[180:183], a[124:125], v[124:125], v[180:183]// 000000004EE8: D3F300B4 0ED2F97C
	s_lshr_b32 s57, s70, 4                                     // 000000004EF0: 8F398446
	s_add_u32 s57, 48, s57                                     // 000000004EF4: 803939B0
	v_mfma_f32_16x16x32_fp8_fp8 v[180:183], a[126:127], v[126:127], v[180:183]// 000000004EF8: D3F300B4 0ED2FD7E
	s_cmp_ge_u32 s57, s73                                      // 000000004F00: BF094939
	s_cselect_b32 s56, 0, s56                                  // 000000004F04: 85383880
	v_add_u32_e32 v1, s56, v1                                  // 000000004F08: 68020238
	s_addk_i32 s70, 0x100                                      // 000000004F0C: B7460100
	s_cmp_lt_i32 s70, s71                                      // 000000004F10: BF044746
	s_cbranch_scc0 label_06A7                                  // 000000004F14: BF84FB61
	s_branch label_06AA                                        // 000000004F18: BF82FB63

0000000000004f1c <label_0B47>:
	s_lshr_b32 s60, s71, 4                                     // 000000004F1C: 8F3C8447
	s_cmp_eq_i32 s60, s73                                      // 000000004F20: BF00493C
	s_cbranch_scc1 label_104A                                  // 000000004F24: BF850500
	s_lshr_b32 s60, s71, 8                                     // 000000004F28: 8F3C8847
	s_and_b32 s60, s60, 1                                      // 000000004F2C: 863C813C
	s_cmp_eq_i32 s60, 1                                        // 000000004F30: BF00813C
	s_cbranch_scc1 label_0DCC                                  // 000000004F34: BF85027E
	s_waitcnt vmcnt(8) lgkmcnt(0)                              // 000000004F38: BF8C0078
	s_barrier                                                  // 000000004F3C: BF8A0000
	v_mfma_f32_16x16x32_fp8_fp8 v[112:115], a[0:1], v[80:81], 0// 000000004F40: D3F30070 0A02A100
	v_mfma_f32_16x16x32_fp8_fp8 v[112:115], a[2:3], v[82:83], v[112:115]// 000000004F48: D3F30070 0DC2A502
	v_mfma_f32_16x16x32_fp8_fp8 v[112:115], a[4:5], v[84:85], v[112:115]// 000000004F50: D3F30070 0DC2A904
	v_mfma_f32_16x16x32_fp8_fp8 v[112:115], a[6:7], v[86:87], v[112:115]// 000000004F58: D3F30070 0DC2AD06
	v_mfma_f32_16x16x32_fp8_fp8 v[116:119], a[8:9], v[80:81], 0// 000000004F60: D3F30074 0A02A108
	v_mfma_f32_16x16x32_fp8_fp8 v[116:119], a[10:11], v[82:83], v[116:119]// 000000004F68: D3F30074 0DD2A50A
	v_mfma_f32_16x16x32_fp8_fp8 v[116:119], a[12:13], v[84:85], v[116:119]// 000000004F70: D3F30074 0DD2A90C
	v_mfma_f32_16x16x32_fp8_fp8 v[116:119], a[14:15], v[86:87], v[116:119]// 000000004F78: D3F30074 0DD2AD0E
	v_mfma_f32_16x16x32_fp8_fp8 v[120:123], a[16:17], v[80:81], 0// 000000004F80: D3F30078 0A02A110
	v_mfma_f32_16x16x32_fp8_fp8 v[120:123], a[18:19], v[82:83], v[120:123]// 000000004F88: D3F30078 0DE2A512
	v_mfma_f32_16x16x32_fp8_fp8 v[120:123], a[20:21], v[84:85], v[120:123]// 000000004F90: D3F30078 0DE2A914
	v_mfma_f32_16x16x32_fp8_fp8 v[120:123], a[22:23], v[86:87], v[120:123]// 000000004F98: D3F30078 0DE2AD16
	v_mfma_f32_16x16x32_fp8_fp8 v[124:127], a[24:25], v[80:81], 0// 000000004FA0: D3F3007C 0A02A118
	v_mfma_f32_16x16x32_fp8_fp8 v[124:127], a[26:27], v[82:83], v[124:127]// 000000004FA8: D3F3007C 0DF2A51A
	v_mfma_f32_16x16x32_fp8_fp8 v[124:127], a[28:29], v[84:85], v[124:127]// 000000004FB0: D3F3007C 0DF2A91C
	v_mfma_f32_16x16x32_fp8_fp8 v[124:127], a[30:31], v[86:87], v[124:127]// 000000004FB8: D3F3007C 0DF2AD1E
	v_mov_b32_dpp v64, v42 row_shr:4 row_mask:0xf bank_mask:0xf// 000000004FC0: 7E8002FA FF01142A
	v_mov_b32_dpp v65, v42 row_shl:4 row_mask:0xf bank_mask:0xf// 000000004FC8: 7E8202FA FF01042A
	v_cndmask_b32_e64 v248, v42, v64, s[44:45]                 // 000000004FD0: D10000F8 00B2812A
	v_cndmask_b32_e64 v249, v65, v42, s[44:45]                 // 000000004FD8: D10000F9 00B25541
	v_mov_b32_dpp v64, v248 row_shr:8 row_mask:0xf bank_mask:0xf// 000000004FE0: 7E8002FA FF0118F8
	v_mov_b32_dpp v65, v248 row_shl:8 row_mask:0xf bank_mask:0xf// 000000004FE8: 7E8202FA FF0108F8
	v_mov_b32_dpp v66, v249 row_shr:8 row_mask:0xf bank_mask:0xf// 000000004FF0: 7E8402FA FF0118F9
	v_mov_b32_dpp v67, v249 row_shl:8 row_mask:0xf bank_mask:0xf// 000000004FF8: 7E8602FA FF0108F9
	v_mov_b32_e32 v68, v248                                    // 000000005000: 7E8803F8
	v_mov_b32_e32 v69, v249                                    // 000000005004: 7E8A03F9
	v_cndmask_b32_e64 v248, v68, v64, s[42:43]                 // 000000005008: D10000F8 00AA8144
	v_cndmask_b32_e64 v250, v68, v65, s[78:79]                 // 000000005010: D10000FA 013A8344
	v_cndmask_b32_e64 v249, v69, v66, s[42:43]                 // 000000005018: D10000F9 00AA8545
	v_cndmask_b32_e64 v251, v69, v67, s[78:79]                 // 000000005020: D10000FB 013A8745
	v_mov_b32_dpp v64, v57 row_shr:4 row_mask:0xf bank_mask:0xf// 000000005028: 7E8002FA FF011439
	v_mov_b32_dpp v65, v57 row_shl:4 row_mask:0xf bank_mask:0xf// 000000005030: 7E8202FA FF010439
	v_cndmask_b32_e64 v252, v57, v64, s[44:45]                 // 000000005038: D10000FC 00B28139
	v_cndmask_b32_e64 v253, v65, v57, s[44:45]                 // 000000005040: D10000FD 00B27341
	v_mov_b32_dpp v64, v252 row_shr:8 row_mask:0xf bank_mask:0xf// 000000005048: 7E8002FA FF0118FC
	v_mov_b32_dpp v65, v252 row_shl:8 row_mask:0xf bank_mask:0xf// 000000005050: 7E8202FA FF0108FC
	v_mov_b32_dpp v66, v253 row_shr:8 row_mask:0xf bank_mask:0xf// 000000005058: 7E8402FA FF0118FD
	v_mov_b32_dpp v67, v253 row_shl:8 row_mask:0xf bank_mask:0xf// 000000005060: 7E8602FA FF0108FD
	v_mov_b32_e32 v68, v252                                    // 000000005068: 7E8803FC
	v_mov_b32_e32 v69, v253                                    // 00000000506C: 7E8A03FD
	v_cndmask_b32_e64 v252, v68, v64, s[42:43]                 // 000000005070: D10000FC 00AA8144
	v_cndmask_b32_e64 v254, v68, v65, s[78:79]                 // 000000005078: D10000FE 013A8344
	v_cndmask_b32_e64 v253, v69, v66, s[42:43]                 // 000000005080: D10000FD 00AA8545
	v_cndmask_b32_e64 v255, v69, v67, s[78:79]                 // 000000005088: D10000FF 013A8745
	v_mul_f32_e32 v112, v18, v112                              // 000000005090: 0AE0E112
	v_mul_f32_e32 v113, v18, v113                              // 000000005094: 0AE2E312
	v_mul_f32_e32 v114, v18, v114                              // 000000005098: 0AE4E512
	v_mul_f32_e32 v115, v18, v115                              // 00000000509C: 0AE6E712
	v_mul_f32_e32 v116, v18, v116                              // 0000000050A0: 0AE8E912
	v_mul_f32_e32 v117, v18, v117                              // 0000000050A4: 0AEAEB12
	v_mul_f32_e32 v118, v18, v118                              // 0000000050A8: 0AECED12
	v_mul_f32_e32 v119, v18, v119                              // 0000000050AC: 0AEEEF12
	v_mul_f32_e32 v120, v18, v120                              // 0000000050B0: 0AF0F112
	v_mul_f32_e32 v121, v18, v121                              // 0000000050B4: 0AF2F312
	v_mul_f32_e32 v122, v18, v122                              // 0000000050B8: 0AF4F512
	v_mul_f32_e32 v123, v18, v123                              // 0000000050BC: 0AF6F712
	v_mul_f32_e32 v124, v18, v124                              // 0000000050C0: 0AF8F912
	v_mul_f32_e32 v125, v18, v125                              // 0000000050C4: 0AFAFB12
	v_mul_f32_e32 v126, v18, v126                              // 0000000050C8: 0AFCFD12
	v_mul_f32_e32 v127, v18, v127                              // 0000000050CC: 0AFEFF12
	v_mul_f32_dpp v112, v248, v112 quad_perm:[0,0,0,0] row_mask:0xf bank_mask:0xf// 0000000050D0: 0AE0E0FA FF0000F8
	v_mul_f32_dpp v113, v248, v113 quad_perm:[1,1,1,1] row_mask:0xf bank_mask:0xf// 0000000050D8: 0AE2E2FA FF0055F8
	v_mul_f32_dpp v114, v248, v114 quad_perm:[2,2,2,2] row_mask:0xf bank_mask:0xf// 0000000050E0: 0AE4E4FA FF00AAF8
	v_mul_f32_dpp v115, v248, v115 quad_perm:[3,3,3,3] row_mask:0xf bank_mask:0xf// 0000000050E8: 0AE6E6FA FF00FFF8
	v_mul_f32_dpp v116, v249, v116 quad_perm:[0,0,0,0] row_mask:0xf bank_mask:0xf// 0000000050F0: 0AE8E8FA FF0000F9
	v_mul_f32_dpp v117, v249, v117 quad_perm:[1,1,1,1] row_mask:0xf bank_mask:0xf// 0000000050F8: 0AEAEAFA FF0055F9
	v_mul_f32_dpp v118, v249, v118 quad_perm:[2,2,2,2] row_mask:0xf bank_mask:0xf// 000000005100: 0AECECFA FF00AAF9
	v_mul_f32_dpp v119, v249, v119 quad_perm:[3,3,3,3] row_mask:0xf bank_mask:0xf// 000000005108: 0AEEEEFA FF00FFF9
	v_mul_f32_dpp v120, v250, v120 quad_perm:[0,0,0,0] row_mask:0xf bank_mask:0xf// 000000005110: 0AF0F0FA FF0000FA
	v_mul_f32_dpp v121, v250, v121 quad_perm:[1,1,1,1] row_mask:0xf bank_mask:0xf// 000000005118: 0AF2F2FA FF0055FA
	v_mul_f32_dpp v122, v250, v122 quad_perm:[2,2,2,2] row_mask:0xf bank_mask:0xf// 000000005120: 0AF4F4FA FF00AAFA
	v_mul_f32_dpp v123, v250, v123 quad_perm:[3,3,3,3] row_mask:0xf bank_mask:0xf// 000000005128: 0AF6F6FA FF00FFFA
	v_mul_f32_dpp v124, v251, v124 quad_perm:[0,0,0,0] row_mask:0xf bank_mask:0xf// 000000005130: 0AF8F8FA FF0000FB
	v_mul_f32_dpp v125, v251, v125 quad_perm:[1,1,1,1] row_mask:0xf bank_mask:0xf// 000000005138: 0AFAFAFA FF0055FB
	v_mul_f32_dpp v126, v251, v126 quad_perm:[2,2,2,2] row_mask:0xf bank_mask:0xf// 000000005140: 0AFCFCFA FF00AAFB
	v_mul_f32_dpp v127, v251, v127 quad_perm:[3,3,3,3] row_mask:0xf bank_mask:0xf// 000000005148: 0AFEFEFA FF00FFFB
	s_and_b32 s60, s72, 0xff                                   // 000000005150: 863CFF48 000000FF
	v_mov_b32_e32 v65, s60                                     // 000000005158: 7E82023C
	v_lshrrev_b32_e32 v240, 4, v0                              // 00000000515C: 21E00084
	v_mul_i32_i24_e32 v240, 4, v240                            // 000000005160: 0DE1E084
	s_mul_i32 s60, s7, 16                                      // 000000005164: 923C9007
	v_add_u32_e32 v240, s60, v240                              // 000000005168: 69E1E03C
	v_add_u32_e32 v241, 1, v240                                // 00000000516C: 69E3E081
	v_add_u32_e32 v242, 2, v240                                // 000000005170: 69E5E082
	v_add_u32_e32 v243, 3, v240                                // 000000005174: 69E7E083
	v_mov_b32_e32 v64, 0xff800000                              // 000000005178: 7E8002FF FF800000
	v_cmp_lt_u32_e64 s[40:41], v240, v65                       // 000000005180: D0C90028 000283F0
	v_add_u32_e32 v240, 64, v240                               // 000000005188: 69E1E0C0
	s_nop 0                                                    // 00000000518C: BF800000
	v_cndmask_b32_e64 v112, v64, v112, s[40:41]                // 000000005190: D1000070 00A2E140
	v_cmp_lt_u32_e64 s[40:41], v241, v65                       // 000000005198: D0C90028 000283F1
	v_add_u32_e32 v241, 64, v241                               // 0000000051A0: 69E3E2C0
	s_nop 0                                                    // 0000000051A4: BF800000
	v_cndmask_b32_e64 v113, v64, v113, s[40:41]                // 0000000051A8: D1000071 00A2E340
	v_cmp_lt_u32_e64 s[40:41], v242, v65                       // 0000000051B0: D0C90028 000283F2
	v_add_u32_e32 v242, 64, v242                               // 0000000051B8: 69E5E4C0
	s_nop 0                                                    // 0000000051BC: BF800000
	v_cndmask_b32_e64 v114, v64, v114, s[40:41]                // 0000000051C0: D1000072 00A2E540
	v_cmp_lt_u32_e64 s[40:41], v243, v65                       // 0000000051C8: D0C90028 000283F3
	v_add_u32_e32 v243, 64, v243                               // 0000000051D0: 69E7E6C0
	s_nop 0                                                    // 0000000051D4: BF800000
	v_cndmask_b32_e64 v115, v64, v115, s[40:41]                // 0000000051D8: D1000073 00A2E740
	v_cmp_lt_u32_e64 s[40:41], v240, v65                       // 0000000051E0: D0C90028 000283F0
	v_add_u32_e32 v240, 64, v240                               // 0000000051E8: 69E1E0C0
	s_nop 0                                                    // 0000000051EC: BF800000
	v_cndmask_b32_e64 v116, v64, v116, s[40:41]                // 0000000051F0: D1000074 00A2E940
	v_cmp_lt_u32_e64 s[40:41], v241, v65                       // 0000000051F8: D0C90028 000283F1
	v_add_u32_e32 v241, 64, v241                               // 000000005200: 69E3E2C0
	s_nop 0                                                    // 000000005204: BF800000
	v_cndmask_b32_e64 v117, v64, v117, s[40:41]                // 000000005208: D1000075 00A2EB40
	v_cmp_lt_u32_e64 s[40:41], v242, v65                       // 000000005210: D0C90028 000283F2
	v_add_u32_e32 v242, 64, v242                               // 000000005218: 69E5E4C0
	s_nop 0                                                    // 00000000521C: BF800000
	v_cndmask_b32_e64 v118, v64, v118, s[40:41]                // 000000005220: D1000076 00A2ED40
	v_cmp_lt_u32_e64 s[40:41], v243, v65                       // 000000005228: D0C90028 000283F3
	v_add_u32_e32 v243, 64, v243                               // 000000005230: 69E7E6C0
	s_nop 0                                                    // 000000005234: BF800000
	v_cndmask_b32_e64 v119, v64, v119, s[40:41]                // 000000005238: D1000077 00A2EF40
	v_cmp_lt_u32_e64 s[40:41], v240, v65                       // 000000005240: D0C90028 000283F0
	v_add_u32_e32 v240, 64, v240                               // 000000005248: 69E1E0C0
	s_nop 0                                                    // 00000000524C: BF800000
	v_cndmask_b32_e64 v120, v64, v120, s[40:41]                // 000000005250: D1000078 00A2F140
	v_cmp_lt_u32_e64 s[40:41], v241, v65                       // 000000005258: D0C90028 000283F1
	v_add_u32_e32 v241, 64, v241                               // 000000005260: 69E3E2C0
	s_nop 0                                                    // 000000005264: BF800000
	v_cndmask_b32_e64 v121, v64, v121, s[40:41]                // 000000005268: D1000079 00A2F340
	v_cmp_lt_u32_e64 s[40:41], v242, v65                       // 000000005270: D0C90028 000283F2
	v_add_u32_e32 v242, 64, v242                               // 000000005278: 69E5E4C0
	s_nop 0                                                    // 00000000527C: BF800000
	v_cndmask_b32_e64 v122, v64, v122, s[40:41]                // 000000005280: D100007A 00A2F540
	v_cmp_lt_u32_e64 s[40:41], v243, v65                       // 000000005288: D0C90028 000283F3
	v_add_u32_e32 v243, 64, v243                               // 000000005290: 69E7E6C0
	s_nop 0                                                    // 000000005294: BF800000
	v_cndmask_b32_e64 v123, v64, v123, s[40:41]                // 000000005298: D100007B 00A2F740
	v_cmp_lt_u32_e64 s[40:41], v240, v65                       // 0000000052A0: D0C90028 000283F0
	v_add_u32_e32 v240, 64, v240                               // 0000000052A8: 69E1E0C0
	s_nop 0                                                    // 0000000052AC: BF800000
	v_cndmask_b32_e64 v124, v64, v124, s[40:41]                // 0000000052B0: D100007C 00A2F940
	v_cmp_lt_u32_e64 s[40:41], v241, v65                       // 0000000052B8: D0C90028 000283F1
	v_add_u32_e32 v241, 64, v241                               // 0000000052C0: 69E3E2C0
	s_nop 0                                                    // 0000000052C4: BF800000
	v_cndmask_b32_e64 v125, v64, v125, s[40:41]                // 0000000052C8: D100007D 00A2FB40
	v_cmp_lt_u32_e64 s[40:41], v242, v65                       // 0000000052D0: D0C90028 000283F2
	v_add_u32_e32 v242, 64, v242                               // 0000000052D8: 69E5E4C0
	s_nop 0                                                    // 0000000052DC: BF800000
	v_cndmask_b32_e64 v126, v64, v126, s[40:41]                // 0000000052E0: D100007E 00A2FD40
	v_cmp_lt_u32_e64 s[40:41], v243, v65                       // 0000000052E8: D0C90028 000283F3
	v_add_u32_e32 v243, 64, v243                               // 0000000052F0: 69E7E6C0
	s_nop 0                                                    // 0000000052F4: BF800000
	v_cndmask_b32_e64 v127, v64, v127, s[40:41]                // 0000000052F8: D100007F 00A2FF40
	v_mov_b32_e32 v48, v112                                    // 000000005300: 7E600370
	v_max3_f32 v48, v112, v113, v48                            // 000000005304: D1D30030 04C2E370
	v_max3_f32 v48, v114, v115, v48                            // 00000000530C: D1D30030 04C2E772
	v_max3_f32 v48, v116, v117, v48                            // 000000005314: D1D30030 04C2EB74
	v_max3_f32 v48, v118, v119, v48                            // 00000000531C: D1D30030 04C2EF76
	v_max3_f32 v48, v120, v121, v48                            // 000000005324: D1D30030 04C2F378
	v_max3_f32 v48, v122, v123, v48                            // 00000000532C: D1D30030 04C2F77A
	v_max3_f32 v48, v124, v125, v48                            // 000000005334: D1D30030 04C2FB7C
	v_max3_f32 v48, v126, v127, v48                            // 00000000533C: D1D30030 04C2FF7E
	ds_write_b32 v8, v48 offset:16896                          // 000000005344: D81A4200 00003008
	v_mul_u32_u24_dpp v64, v17, v54 row_newbcast:1 row_mask:0xf bank_mask:0xf// 00000000534C: 10806CFA FF015111
	v_mul_u32_u24_dpp v65, v17, v54 row_newbcast:5 row_mask:0xf bank_mask:0xf// 000000005354: 10826CFA FF015511
	v_mul_u32_u24_dpp v66, v17, v54 row_newbcast:9 row_mask:0xf bank_mask:0xf// 00000000535C: 10846CFA FF015911
	v_mul_u32_u24_dpp v67, v17, v54 row_newbcast:13 row_mask:0xf bank_mask:0xf// 000000005364: 10866CFA FF015D11
	v_add_u32_e32 v34, v64, v6                                 // 00000000536C: 68440D40
	v_add_u32_e32 v35, v65, v6                                 // 000000005370: 68460D41
	v_add_u32_e32 v36, v66, v6                                 // 000000005374: 68480D42
	v_add_u32_e32 v37, v67, v6                                 // 000000005378: 684A0D43
	v_mul_f32_e32 v208, v49, v208                              // 00000000537C: 0BA1A131
	v_mul_f32_e32 v209, v49, v209                              // 000000005380: 0BA3A331
	v_mul_f32_e32 v210, v49, v210                              // 000000005384: 0BA5A531
	v_mul_f32_e32 v211, v49, v211                              // 000000005388: 0BA7A731
	v_mul_f32_e32 v212, v49, v212                              // 00000000538C: 0BA9A931
	v_mul_f32_e32 v213, v49, v213                              // 000000005390: 0BABAB31
	v_mul_f32_e32 v214, v49, v214                              // 000000005394: 0BADAD31
	v_mul_f32_e32 v215, v49, v215                              // 000000005398: 0BAFAF31
	s_waitcnt lgkmcnt(0)                                       // 00000000539C: BF8CC07F
	s_barrier                                                  // 0000000053A0: BF8A0000
	ds_read_b32 v64, v7 offset:16896                           // 0000000053A4: D86C4200 40000007
	ds_read_b32 v65, v7 offset:16960                           // 0000000053AC: D86C4240 41000007
	ds_read_b32 v66, v7 offset:17024                           // 0000000053B4: D86C4280 42000007
	ds_read_b32 v67, v7 offset:17088                           // 0000000053BC: D86C42C0 43000007
	ds_read_b32 v68, v7 offset:17152                           // 0000000053C4: D86C4300 44000007
	ds_read_b32 v69, v7 offset:17216                           // 0000000053CC: D86C4340 45000007
	ds_read_b32 v70, v7 offset:17280                           // 0000000053D4: D86C4380 46000007
	ds_read_b32 v71, v7 offset:17344                           // 0000000053DC: D86C43C0 47000007
	ds_read_b32 v72, v7 offset:17408                           // 0000000053E4: D86C4400 48000007
	ds_read_b32 v73, v7 offset:17472                           // 0000000053EC: D86C4440 49000007
	ds_read_b32 v74, v7 offset:17536                           // 0000000053F4: D86C4480 4A000007
	ds_read_b32 v75, v7 offset:17600                           // 0000000053FC: D86C44C0 4B000007
	ds_read_b32 v76, v7 offset:17664                           // 000000005404: D86C4500 4C000007
	ds_read_b32 v77, v7 offset:17728                           // 00000000540C: D86C4540 4D000007
	ds_read_b32 v78, v7 offset:17792                           // 000000005414: D86C4580 4E000007
	ds_read_b32 v79, v7 offset:17856                           // 00000000541C: D86C45C0 4F000007
	v_mul_f32_e32 v176, v44, v176                              // 000000005424: 0B61612C
	v_mul_f32_e32 v177, v44, v177                              // 000000005428: 0B63632C
	v_mul_f32_e32 v178, v44, v178                              // 00000000542C: 0B65652C
	v_mul_f32_e32 v179, v44, v179                              // 000000005430: 0B67672C
	v_mul_f32_e32 v180, v44, v180                              // 000000005434: 0B69692C
	v_mul_f32_e32 v181, v44, v181                              // 000000005438: 0B6B6B2C
	v_mul_f32_e32 v182, v44, v182                              // 00000000543C: 0B6D6D2C
	v_mul_f32_e32 v183, v44, v183                              // 000000005440: 0B6F6F2C
	s_waitcnt lgkmcnt(0)                                       // 000000005444: BF8CC07F
	v_max3_f32 v48, v64, v65, v48                              // 000000005448: D1D30030 04C28340
	v_max3_f32 v48, v66, v67, v48                              // 000000005450: D1D30030 04C28742
	v_max3_f32 v48, v68, v69, v48                              // 000000005458: D1D30030 04C28B44
	v_max3_f32 v48, v70, v71, v48                              // 000000005460: D1D30030 04C28F46
	v_max3_f32 v48, v72, v73, v48                              // 000000005468: D1D30030 04C29348
	v_max3_f32 v48, v74, v75, v48                              // 000000005470: D1D30030 04C2974A
	v_max3_f32 v48, v76, v77, v48                              // 000000005478: D1D30030 04C29B4C
	v_max3_f32 v48, v78, v79, v48                              // 000000005480: D1D30030 04C29F4E
	v_mov_b32_e32 v64, 0xff800000                              // 000000005488: 7E8002FF FF800000
	v_cmp_eq_u32_e64 s[40:41], v64, v11                        // 000000005490: D0CA0028 00021740
	s_nop 1                                                    // 000000005498: BF800001
	v_max_f32_e32 v15, v48, v11                                // 00000000549C: 161E1730
	v_mul_f32_e32 v53, s64, v15                                // 0000000054A0: 0A6A1E40
	v_fma_f32 v112, v112, s64, -v53                            // 0000000054A4: D1CB0070 84D48170
	v_fma_f32 v113, v113, s64, -v53                            // 0000000054AC: D1CB0071 84D48171
	v_fma_f32 v114, v114, s64, -v53                            // 0000000054B4: D1CB0072 84D48172
	v_fma_f32 v115, v115, s64, -v53                            // 0000000054BC: D1CB0073 84D48173
	v_fma_f32 v116, v116, s64, -v53                            // 0000000054C4: D1CB0074 84D48174
	v_fma_f32 v117, v117, s64, -v53                            // 0000000054CC: D1CB0075 84D48175
	v_fma_f32 v118, v118, s64, -v53                            // 0000000054D4: D1CB0076 84D48176
	v_fma_f32 v119, v119, s64, -v53                            // 0000000054DC: D1CB0077 84D48177
	v_fma_f32 v120, v120, s64, -v53                            // 0000000054E4: D1CB0078 84D48178
	v_fma_f32 v121, v121, s64, -v53                            // 0000000054EC: D1CB0079 84D48179
	v_fma_f32 v122, v122, s64, -v53                            // 0000000054F4: D1CB007A 84D4817A
	v_fma_f32 v123, v123, s64, -v53                            // 0000000054FC: D1CB007B 84D4817B
	v_fma_f32 v124, v124, s64, -v53                            // 000000005504: D1CB007C 84D4817C
	v_fma_f32 v125, v125, s64, -v53                            // 00000000550C: D1CB007D 84D4817D
	v_fma_f32 v126, v126, s64, -v53                            // 000000005514: D1CB007E 84D4817E
	v_fma_f32 v127, v127, s64, -v53                            // 00000000551C: D1CB007F 84D4817F
	v_exp_f32_e32 v112, v112                                   // 000000005524: 7EE04170
	v_exp_f32_e32 v113, v113                                   // 000000005528: 7EE24171
	v_exp_f32_e32 v114, v114                                   // 00000000552C: 7EE44172
	v_exp_f32_e32 v115, v115                                   // 000000005530: 7EE64173
	v_exp_f32_e32 v116, v116                                   // 000000005534: 7EE84174
	v_exp_f32_e32 v117, v117                                   // 000000005538: 7EEA4175
	v_exp_f32_e32 v118, v118                                   // 00000000553C: 7EEC4176
	v_exp_f32_e32 v119, v119                                   // 000000005540: 7EEE4177
	v_exp_f32_e32 v120, v120                                   // 000000005544: 7EF04178
	v_exp_f32_e32 v121, v121                                   // 000000005548: 7EF24179
	v_exp_f32_e32 v122, v122                                   // 00000000554C: 7EF4417A
	v_exp_f32_e32 v123, v123                                   // 000000005550: 7EF6417B
	v_exp_f32_e32 v124, v124                                   // 000000005554: 7EF8417C
	v_exp_f32_e32 v125, v125                                   // 000000005558: 7EFA417D
	v_exp_f32_e32 v126, v126                                   // 00000000555C: 7EFC417E
	v_exp_f32_e32 v127, v127                                   // 000000005560: 7EFE417F
	v_mul_f32_dpp v240, v252, v112 quad_perm:[0,0,0,0] row_mask:0xf bank_mask:0xf// 000000005564: 0BE0E0FA FF0000FC
	v_mul_f32_dpp v241, v252, v113 quad_perm:[1,1,1,1] row_mask:0xf bank_mask:0xf// 00000000556C: 0BE2E2FA FF0055FC
	v_mul_f32_dpp v242, v252, v114 quad_perm:[2,2,2,2] row_mask:0xf bank_mask:0xf// 000000005574: 0BE4E4FA FF00AAFC
	v_mul_f32_dpp v243, v252, v115 quad_perm:[3,3,3,3] row_mask:0xf bank_mask:0xf// 00000000557C: 0BE6E6FA FF00FFFC
	v_mul_f32_dpp v244, v253, v116 quad_perm:[0,0,0,0] row_mask:0xf bank_mask:0xf// 000000005584: 0BE8E8FA FF0000FD
	v_mul_f32_dpp v245, v253, v117 quad_perm:[1,1,1,1] row_mask:0xf bank_mask:0xf// 00000000558C: 0BEAEAFA FF0055FD
	v_mul_f32_dpp v246, v253, v118 quad_perm:[2,2,2,2] row_mask:0xf bank_mask:0xf// 000000005594: 0BECECFA FF00AAFD
	v_mul_f32_dpp v247, v253, v119 quad_perm:[3,3,3,3] row_mask:0xf bank_mask:0xf// 00000000559C: 0BEEEEFA FF00FFFD
	v_mul_f32_dpp v248, v254, v120 quad_perm:[0,0,0,0] row_mask:0xf bank_mask:0xf// 0000000055A4: 0BF0F0FA FF0000FE
	v_mul_f32_dpp v249, v254, v121 quad_perm:[1,1,1,1] row_mask:0xf bank_mask:0xf// 0000000055AC: 0BF2F2FA FF0055FE
	v_mul_f32_dpp v250, v254, v122 quad_perm:[2,2,2,2] row_mask:0xf bank_mask:0xf// 0000000055B4: 0BF4F4FA FF00AAFE
	v_mul_f32_dpp v251, v254, v123 quad_perm:[3,3,3,3] row_mask:0xf bank_mask:0xf// 0000000055BC: 0BF6F6FA FF00FFFE
	v_mul_f32_dpp v252, v255, v124 quad_perm:[0,0,0,0] row_mask:0xf bank_mask:0xf// 0000000055C4: 0BF8F8FA FF0000FF
	v_mul_f32_dpp v253, v255, v125 quad_perm:[1,1,1,1] row_mask:0xf bank_mask:0xf// 0000000055CC: 0BFAFAFA FF0055FF
	v_mul_f32_dpp v254, v255, v126 quad_perm:[2,2,2,2] row_mask:0xf bank_mask:0xf// 0000000055D4: 0BFCFCFA FF00AAFF
	v_mul_f32_dpp v255, v255, v127 quad_perm:[3,3,3,3] row_mask:0xf bank_mask:0xf// 0000000055DC: 0BFEFEFA FF00FFFF
	v_mov_b32_e32 v48, 0x358637bd                              // 0000000055E4: 7E6002FF 358637BD
	v_max3_f32 v48, |v240|, |v241|, v48                        // 0000000055EC: D1D30330 04C3E3F0
	v_max3_f32 v48, |v242|, |v243|, v48                        // 0000000055F4: D1D30330 04C3E7F2
	v_max3_f32 v48, |v244|, |v245|, v48                        // 0000000055FC: D1D30330 04C3EBF4
	v_max3_f32 v48, |v246|, |v247|, v48                        // 000000005604: D1D30330 04C3EFF6
	v_max3_f32 v48, |v248|, |v249|, v48                        // 00000000560C: D1D30330 04C3F3F8
	v_max3_f32 v48, |v250|, |v251|, v48                        // 000000005614: D1D30330 04C3F7FA
	v_max3_f32 v48, |v252|, |v253|, v48                        // 00000000561C: D1D30330 04C3FBFC
	v_max3_f32 v48, |v254|, |v255|, v48                        // 000000005624: D1D30330 04C3FFFE
	ds_write_b32 v8, v48 offset:20992                          // 00000000562C: D81A5200 00003008
	v_sub_f32_e32 v49, v11, v15                                // 000000005634: 04621F0B
	v_cndmask_b32_e64 v49, v49, 0, s[40:41]                    // 000000005638: D1000031 00A10131
	v_mov_b32_e32 v11, v15                                     // 000000005640: 7E16030F
	v_mul_f32_e32 v49, s64, v49                                // 000000005644: 0A626240
	v_exp_f32_e32 v49, v49                                     // 000000005648: 7E624131
	s_waitcnt lgkmcnt(0)                                       // 00000000564C: BF8CC07F
	s_barrier                                                  // 000000005650: BF8A0000
	ds_read_b32 v64, v7 offset:20992                           // 000000005654: D86C5200 40000007
	ds_read_b32 v65, v7 offset:21056                           // 00000000565C: D86C5240 41000007
	ds_read_b32 v66, v7 offset:21120                           // 000000005664: D86C5280 42000007
	ds_read_b32 v67, v7 offset:21184                           // 00000000566C: D86C52C0 43000007
	ds_read_b32 v68, v7 offset:21248                           // 000000005674: D86C5300 44000007
	ds_read_b32 v69, v7 offset:21312                           // 00000000567C: D86C5340 45000007
	ds_read_b32 v70, v7 offset:21376                           // 000000005684: D86C5380 46000007
	ds_read_b32 v71, v7 offset:21440                           // 00000000568C: D86C53C0 47000007
	ds_read_b32 v72, v7 offset:21504                           // 000000005694: D86C5400 48000007
	ds_read_b32 v73, v7 offset:21568                           // 00000000569C: D86C5440 49000007
	ds_read_b32 v74, v7 offset:21632                           // 0000000056A4: D86C5480 4A000007
	ds_read_b32 v75, v7 offset:21696                           // 0000000056AC: D86C54C0 4B000007
	ds_read_b32 v76, v7 offset:21760                           // 0000000056B4: D86C5500 4C000007
	ds_read_b32 v77, v7 offset:21824                           // 0000000056BC: D86C5540 4D000007
	ds_read_b32 v78, v7 offset:21888                           // 0000000056C4: D86C5580 4E000007
	ds_read_b32 v79, v7 offset:21952                           // 0000000056CC: D86C55C0 4F000007
	v_mul_f32_e32 v38, v49, v38                                // 0000000056D4: 0A4C4D31
	v_mov_b32_e32 v15, v112                                    // 0000000056D8: 7E1E0370
	v_add_f32_e32 v15, v113, v15                               // 0000000056DC: 021E1F71
	v_add_f32_e32 v15, v114, v15                               // 0000000056E0: 021E1F72
	v_add_f32_e32 v15, v115, v15                               // 0000000056E4: 021E1F73
	v_add_f32_e32 v15, v116, v15                               // 0000000056E8: 021E1F74
	v_add_f32_e32 v15, v117, v15                               // 0000000056EC: 021E1F75
	v_add_f32_e32 v15, v118, v15                               // 0000000056F0: 021E1F76
	v_add_f32_e32 v15, v119, v15                               // 0000000056F4: 021E1F77
	v_add_f32_e32 v15, v120, v15                               // 0000000056F8: 021E1F78
	v_add_f32_e32 v15, v121, v15                               // 0000000056FC: 021E1F79
	v_add_f32_e32 v15, v122, v15                               // 000000005700: 021E1F7A
	v_add_f32_e32 v15, v123, v15                               // 000000005704: 021E1F7B
	v_add_f32_e32 v15, v124, v15                               // 000000005708: 021E1F7C
	v_add_f32_e32 v15, v125, v15                               // 00000000570C: 021E1F7D
	v_add_f32_e32 v15, v126, v15                               // 000000005710: 021E1F7E
	v_add_f32_e32 v15, v127, v15                               // 000000005714: 021E1F7F
	v_add_f32_e32 v38, v15, v38                                // 000000005718: 024C4D0F
	s_waitcnt lgkmcnt(0)                                       // 00000000571C: BF8CC07F
	v_max3_f32 v48, |v64|, |v65|, v48                          // 000000005720: D1D30330 04C28340
	v_max3_f32 v48, |v66|, |v67|, v48                          // 000000005728: D1D30330 04C28742
	v_max3_f32 v48, |v68|, |v69|, v48                          // 000000005730: D1D30330 04C28B44
	v_max3_f32 v48, |v70|, |v71|, v48                          // 000000005738: D1D30330 04C28F46
	v_max3_f32 v48, |v72|, |v73|, v48                          // 000000005740: D1D30330 04C29348
	v_max3_f32 v48, |v74|, |v75|, v48                          // 000000005748: D1D30330 04C2974A
	v_max3_f32 v48, |v76|, |v77|, v48                          // 000000005750: D1D30330 04C29B4C
	v_max3_f32 v48, |v78|, |v79|, v48                          // 000000005758: D1D30330 04C29F4E
	s_nop 2                                                    // 000000005760: BF800002
	v_rcp_f32_e32 v48, v48                                     // 000000005764: 7E604530
	s_nop 1                                                    // 000000005768: BF800001
	v_mul_f32_e32 v48, 0x43e00000, v48                         // 00000000576C: 0A6060FF 43E00000
	v_mul_f32_e32 v112, v48, v240                              // 000000005774: 0AE1E130
	v_mul_f32_e32 v113, v48, v241                              // 000000005778: 0AE3E330
	v_mul_f32_e32 v114, v48, v242                              // 00000000577C: 0AE5E530
	v_mul_f32_e32 v115, v48, v243                              // 000000005780: 0AE7E730
	v_mul_f32_e32 v116, v48, v244                              // 000000005784: 0AE9E930
	v_mul_f32_e32 v117, v48, v245                              // 000000005788: 0AEBEB30
	v_mul_f32_e32 v118, v48, v246                              // 00000000578C: 0AEDED30
	v_mul_f32_e32 v119, v48, v247                              // 000000005790: 0AEFEF30
	v_mul_f32_e32 v120, v48, v248                              // 000000005794: 0AF1F130
	v_mul_f32_e32 v121, v48, v249                              // 000000005798: 0AF3F330
	v_mul_f32_e32 v122, v48, v250                              // 00000000579C: 0AF5F530
	v_mul_f32_e32 v123, v48, v251                              // 0000000057A0: 0AF7F730
	v_mul_f32_e32 v124, v48, v252                              // 0000000057A4: 0AF9F930
	v_mul_f32_e32 v125, v48, v253                              // 0000000057A8: 0AFBFB30
	v_mul_f32_e32 v126, v48, v254                              // 0000000057AC: 0AFDFD30
	v_mul_f32_e32 v127, v48, v255                              // 0000000057B0: 0AFFFF30
	v_cvt_pk_fp8_f32 v112, v112, v113                          // 0000000057B4: D2A20070 0002E370
	v_cvt_pk_fp8_f32 v112, v114, v115 op_sel:[0,0,1]           // 0000000057BC: D2A24070 0002E772
	v_cvt_pk_fp8_f32 v113, v116, v117                          // 0000000057C4: D2A20071 0002EB74
	v_cvt_pk_fp8_f32 v113, v118, v119 op_sel:[0,0,1]           // 0000000057CC: D2A24071 0002EF76
	v_cvt_pk_fp8_f32 v114, v120, v121                          // 0000000057D4: D2A20072 0002F378
	v_cvt_pk_fp8_f32 v114, v122, v123 op_sel:[0,0,1]           // 0000000057DC: D2A24072 0002F77A
	v_cvt_pk_fp8_f32 v115, v124, v125                          // 0000000057E4: D2A20073 0002FB7C
	v_cvt_pk_fp8_f32 v115, v126, v127 op_sel:[0,0,1]           // 0000000057EC: D2A24073 0002FF7E
	ds_write_b32 v10, v112 offset:25088                        // 0000000057F4: D81A6200 0000700A
	ds_write_b32 v10, v113 offset:26112                        // 0000000057FC: D81A6600 0000710A
	ds_write_b32 v10, v114 offset:27136                        // 000000005804: D81A6A00 0000720A
	ds_write_b32 v10, v115 offset:28160                        // 00000000580C: D81A6E00 0000730A
	v_add_f32_e32 v208, v208, v176                             // 000000005814: 03A161D0
	v_add_f32_e32 v209, v209, v177                             // 000000005818: 03A363D1
	v_add_f32_e32 v210, v210, v178                             // 00000000581C: 03A565D2
	v_add_f32_e32 v211, v211, v179                             // 000000005820: 03A767D3
	v_add_f32_e32 v212, v212, v180                             // 000000005824: 03A969D4
	v_add_f32_e32 v213, v213, v181                             // 000000005828: 03AB6BD5
	v_add_f32_e32 v214, v214, v182                             // 00000000582C: 03AD6DD6
	v_add_f32_e32 v215, v215, v183                             // 000000005830: 03AF6FD7
	v_rcp_f32_e32 v44, v48                                     // 000000005834: 7E584530
	s_waitcnt lgkmcnt(0)                                       // 000000005838: BF8CC07F
	s_barrier                                                  // 00000000583C: BF8A0000
	ds_read_b64 v[112:113], v9 offset:25088                    // 000000005840: D8EC6200 70000009
	ds_read_b64 v[114:115], v9 offset:25216                    // 000000005848: D8EC6280 72000009
	ds_read_b64 v[116:117], v9 offset:26112                    // 000000005850: D8EC6600 74000009
	ds_read_b64 v[118:119], v9 offset:26240                    // 000000005858: D8EC6680 76000009
	ds_read_b64 v[120:121], v9 offset:27136                    // 000000005860: D8EC6A00 78000009
	ds_read_b64 v[122:123], v9 offset:27264                    // 000000005868: D8EC6A80 7A000009
	ds_read_b64 v[124:125], v9 offset:28160                    // 000000005870: D8EC6E00 7C000009
	ds_read_b64 v[126:127], v9 offset:28288                    // 000000005878: D8EC6E80 7E000009
	s_waitcnt vmcnt(0)                                         // 000000005880: BF8C0F70
	s_barrier                                                  // 000000005884: BF8A0000
	s_waitcnt lgkmcnt(7)                                       // 000000005888: BF8CC77F
	v_mfma_f32_16x16x32_fp8_fp8 v[176:179], a[64:65], v[112:113], 0// 00000000588C: D3F300B0 0A02E140
	s_waitcnt lgkmcnt(6)                                       // 000000005894: BF8CC67F
	v_mfma_f32_16x16x32_fp8_fp8 v[176:179], a[66:67], v[114:115], v[176:179]// 000000005898: D3F300B0 0EC2E542
	s_waitcnt lgkmcnt(5)                                       // 0000000058A0: BF8CC57F
	v_mfma_f32_16x16x32_fp8_fp8 v[176:179], a[68:69], v[116:117], v[176:179]// 0000000058A4: D3F300B0 0EC2E944
	s_waitcnt lgkmcnt(4)                                       // 0000000058AC: BF8CC47F
	v_mfma_f32_16x16x32_fp8_fp8 v[176:179], a[70:71], v[118:119], v[176:179]// 0000000058B0: D3F300B0 0EC2ED46
	s_waitcnt lgkmcnt(3)                                       // 0000000058B8: BF8CC37F
	v_mfma_f32_16x16x32_fp8_fp8 v[176:179], a[72:73], v[120:121], v[176:179]// 0000000058BC: D3F300B0 0EC2F148
	s_waitcnt lgkmcnt(2)                                       // 0000000058C4: BF8CC27F
	v_mfma_f32_16x16x32_fp8_fp8 v[176:179], a[74:75], v[122:123], v[176:179]// 0000000058C8: D3F300B0 0EC2F54A
	s_waitcnt lgkmcnt(1)                                       // 0000000058D0: BF8CC17F
	v_mfma_f32_16x16x32_fp8_fp8 v[176:179], a[76:77], v[124:125], v[176:179]// 0000000058D4: D3F300B0 0EC2F94C
	s_waitcnt lgkmcnt(0)                                       // 0000000058DC: BF8CC07F
	v_mfma_f32_16x16x32_fp8_fp8 v[176:179], a[78:79], v[126:127], v[176:179]// 0000000058E0: D3F300B0 0EC2FD4E
	v_mfma_f32_16x16x32_fp8_fp8 v[180:183], a[80:81], v[112:113], 0// 0000000058E8: D3F300B4 0A02E150
	v_mfma_f32_16x16x32_fp8_fp8 v[180:183], a[82:83], v[114:115], v[180:183]// 0000000058F0: D3F300B4 0ED2E552
	v_mfma_f32_16x16x32_fp8_fp8 v[180:183], a[84:85], v[116:117], v[180:183]// 0000000058F8: D3F300B4 0ED2E954
	v_mfma_f32_16x16x32_fp8_fp8 v[180:183], a[86:87], v[118:119], v[180:183]// 000000005900: D3F300B4 0ED2ED56
	v_mfma_f32_16x16x32_fp8_fp8 v[180:183], a[88:89], v[120:121], v[180:183]// 000000005908: D3F300B4 0ED2F158
	v_mfma_f32_16x16x32_fp8_fp8 v[180:183], a[90:91], v[122:123], v[180:183]// 000000005910: D3F300B4 0ED2F55A
	v_mfma_f32_16x16x32_fp8_fp8 v[180:183], a[92:93], v[124:125], v[180:183]// 000000005918: D3F300B4 0ED2F95C
	v_mfma_f32_16x16x32_fp8_fp8 v[180:183], a[94:95], v[126:127], v[180:183]// 000000005920: D3F300B4 0ED2FD5E
	s_nop 4                                                    // 000000005928: BF800004
	s_branch label_104A                                        // 00000000592C: BF82027E

0000000000005930 <label_0DCC>:
	s_waitcnt vmcnt(8) lgkmcnt(0)                              // 000000005930: BF8C0078
	s_barrier                                                  // 000000005934: BF8A0000
	v_mfma_f32_16x16x32_fp8_fp8 v[112:115], a[32:33], v[80:81], 0// 000000005938: D3F30070 0A02A120
	v_mfma_f32_16x16x32_fp8_fp8 v[112:115], a[34:35], v[82:83], v[112:115]// 000000005940: D3F30070 0DC2A522
	v_mfma_f32_16x16x32_fp8_fp8 v[112:115], a[36:37], v[84:85], v[112:115]// 000000005948: D3F30070 0DC2A924
	v_mfma_f32_16x16x32_fp8_fp8 v[112:115], a[38:39], v[86:87], v[112:115]// 000000005950: D3F30070 0DC2AD26
	v_mfma_f32_16x16x32_fp8_fp8 v[116:119], a[40:41], v[80:81], 0// 000000005958: D3F30074 0A02A128
	v_mfma_f32_16x16x32_fp8_fp8 v[116:119], a[42:43], v[82:83], v[116:119]// 000000005960: D3F30074 0DD2A52A
	v_mfma_f32_16x16x32_fp8_fp8 v[116:119], a[44:45], v[84:85], v[116:119]// 000000005968: D3F30074 0DD2A92C
	v_mfma_f32_16x16x32_fp8_fp8 v[116:119], a[46:47], v[86:87], v[116:119]// 000000005970: D3F30074 0DD2AD2E
	v_mfma_f32_16x16x32_fp8_fp8 v[120:123], a[48:49], v[80:81], 0// 000000005978: D3F30078 0A02A130
	v_mfma_f32_16x16x32_fp8_fp8 v[120:123], a[50:51], v[82:83], v[120:123]// 000000005980: D3F30078 0DE2A532
	v_mfma_f32_16x16x32_fp8_fp8 v[120:123], a[52:53], v[84:85], v[120:123]// 000000005988: D3F30078 0DE2A934
	v_mfma_f32_16x16x32_fp8_fp8 v[120:123], a[54:55], v[86:87], v[120:123]// 000000005990: D3F30078 0DE2AD36
	v_mfma_f32_16x16x32_fp8_fp8 v[124:127], a[56:57], v[80:81], 0// 000000005998: D3F3007C 0A02A138
	v_mfma_f32_16x16x32_fp8_fp8 v[124:127], a[58:59], v[82:83], v[124:127]// 0000000059A0: D3F3007C 0DF2A53A
	v_mfma_f32_16x16x32_fp8_fp8 v[124:127], a[60:61], v[84:85], v[124:127]// 0000000059A8: D3F3007C 0DF2A93C
	v_mfma_f32_16x16x32_fp8_fp8 v[124:127], a[62:63], v[86:87], v[124:127]// 0000000059B0: D3F3007C 0DF2AD3E
	v_mov_b32_dpp v64, v43 row_shr:4 row_mask:0xf bank_mask:0xf// 0000000059B8: 7E8002FA FF01142B
	v_mov_b32_dpp v65, v43 row_shl:4 row_mask:0xf bank_mask:0xf// 0000000059C0: 7E8202FA FF01042B
	v_cndmask_b32_e64 v248, v43, v64, s[44:45]                 // 0000000059C8: D10000F8 00B2812B
	v_cndmask_b32_e64 v249, v65, v43, s[44:45]                 // 0000000059D0: D10000F9 00B25741
	v_mov_b32_dpp v64, v248 row_shr:8 row_mask:0xf bank_mask:0xf// 0000000059D8: 7E8002FA FF0118F8
	v_mov_b32_dpp v65, v248 row_shl:8 row_mask:0xf bank_mask:0xf// 0000000059E0: 7E8202FA FF0108F8
	v_mov_b32_dpp v66, v249 row_shr:8 row_mask:0xf bank_mask:0xf// 0000000059E8: 7E8402FA FF0118F9
	v_mov_b32_dpp v67, v249 row_shl:8 row_mask:0xf bank_mask:0xf// 0000000059F0: 7E8602FA FF0108F9
	v_mov_b32_e32 v68, v248                                    // 0000000059F8: 7E8803F8
	v_mov_b32_e32 v69, v249                                    // 0000000059FC: 7E8A03F9
	v_cndmask_b32_e64 v248, v68, v64, s[42:43]                 // 000000005A00: D10000F8 00AA8144
	v_cndmask_b32_e64 v250, v68, v65, s[78:79]                 // 000000005A08: D10000FA 013A8344
	v_cndmask_b32_e64 v249, v69, v66, s[42:43]                 // 000000005A10: D10000F9 00AA8545
	v_cndmask_b32_e64 v251, v69, v67, s[78:79]                 // 000000005A18: D10000FB 013A8745
	v_mov_b32_dpp v64, v58 row_shr:4 row_mask:0xf bank_mask:0xf// 000000005A20: 7E8002FA FF01143A
	v_mov_b32_dpp v65, v58 row_shl:4 row_mask:0xf bank_mask:0xf// 000000005A28: 7E8202FA FF01043A
	v_cndmask_b32_e64 v252, v58, v64, s[44:45]                 // 000000005A30: D10000FC 00B2813A
	v_cndmask_b32_e64 v253, v65, v58, s[44:45]                 // 000000005A38: D10000FD 00B27541
	v_mov_b32_dpp v64, v252 row_shr:8 row_mask:0xf bank_mask:0xf// 000000005A40: 7E8002FA FF0118FC
	v_mov_b32_dpp v65, v252 row_shl:8 row_mask:0xf bank_mask:0xf// 000000005A48: 7E8202FA FF0108FC
	v_mov_b32_dpp v66, v253 row_shr:8 row_mask:0xf bank_mask:0xf// 000000005A50: 7E8402FA FF0118FD
	v_mov_b32_dpp v67, v253 row_shl:8 row_mask:0xf bank_mask:0xf// 000000005A58: 7E8602FA FF0108FD
	v_mov_b32_e32 v68, v252                                    // 000000005A60: 7E8803FC
	v_mov_b32_e32 v69, v253                                    // 000000005A64: 7E8A03FD
	v_cndmask_b32_e64 v252, v68, v64, s[42:43]                 // 000000005A68: D10000FC 00AA8144
	v_cndmask_b32_e64 v254, v68, v65, s[78:79]                 // 000000005A70: D10000FE 013A8344
	v_cndmask_b32_e64 v253, v69, v66, s[42:43]                 // 000000005A78: D10000FD 00AA8545
	v_cndmask_b32_e64 v255, v69, v67, s[78:79]                 // 000000005A80: D10000FF 013A8745
	v_mul_f32_e32 v112, v18, v112                              // 000000005A88: 0AE0E112
	v_mul_f32_e32 v113, v18, v113                              // 000000005A8C: 0AE2E312
	v_mul_f32_e32 v114, v18, v114                              // 000000005A90: 0AE4E512
	v_mul_f32_e32 v115, v18, v115                              // 000000005A94: 0AE6E712
	v_mul_f32_e32 v116, v18, v116                              // 000000005A98: 0AE8E912
	v_mul_f32_e32 v117, v18, v117                              // 000000005A9C: 0AEAEB12
	v_mul_f32_e32 v118, v18, v118                              // 000000005AA0: 0AECED12
	v_mul_f32_e32 v119, v18, v119                              // 000000005AA4: 0AEEEF12
	v_mul_f32_e32 v120, v18, v120                              // 000000005AA8: 0AF0F112
	v_mul_f32_e32 v121, v18, v121                              // 000000005AAC: 0AF2F312
	v_mul_f32_e32 v122, v18, v122                              // 000000005AB0: 0AF4F512
	v_mul_f32_e32 v123, v18, v123                              // 000000005AB4: 0AF6F712
	v_mul_f32_e32 v124, v18, v124                              // 000000005AB8: 0AF8F912
	v_mul_f32_e32 v125, v18, v125                              // 000000005ABC: 0AFAFB12
	v_mul_f32_e32 v126, v18, v126                              // 000000005AC0: 0AFCFD12
	v_mul_f32_e32 v127, v18, v127                              // 000000005AC4: 0AFEFF12
	v_mul_f32_dpp v112, v248, v112 quad_perm:[0,0,0,0] row_mask:0xf bank_mask:0xf// 000000005AC8: 0AE0E0FA FF0000F8
	v_mul_f32_dpp v113, v248, v113 quad_perm:[1,1,1,1] row_mask:0xf bank_mask:0xf// 000000005AD0: 0AE2E2FA FF0055F8
	v_mul_f32_dpp v114, v248, v114 quad_perm:[2,2,2,2] row_mask:0xf bank_mask:0xf// 000000005AD8: 0AE4E4FA FF00AAF8
	v_mul_f32_dpp v115, v248, v115 quad_perm:[3,3,3,3] row_mask:0xf bank_mask:0xf// 000000005AE0: 0AE6E6FA FF00FFF8
	v_mul_f32_dpp v116, v249, v116 quad_perm:[0,0,0,0] row_mask:0xf bank_mask:0xf// 000000005AE8: 0AE8E8FA FF0000F9
	v_mul_f32_dpp v117, v249, v117 quad_perm:[1,1,1,1] row_mask:0xf bank_mask:0xf// 000000005AF0: 0AEAEAFA FF0055F9
	v_mul_f32_dpp v118, v249, v118 quad_perm:[2,2,2,2] row_mask:0xf bank_mask:0xf// 000000005AF8: 0AECECFA FF00AAF9
	v_mul_f32_dpp v119, v249, v119 quad_perm:[3,3,3,3] row_mask:0xf bank_mask:0xf// 000000005B00: 0AEEEEFA FF00FFF9
	v_mul_f32_dpp v120, v250, v120 quad_perm:[0,0,0,0] row_mask:0xf bank_mask:0xf// 000000005B08: 0AF0F0FA FF0000FA
	v_mul_f32_dpp v121, v250, v121 quad_perm:[1,1,1,1] row_mask:0xf bank_mask:0xf// 000000005B10: 0AF2F2FA FF0055FA
	v_mul_f32_dpp v122, v250, v122 quad_perm:[2,2,2,2] row_mask:0xf bank_mask:0xf// 000000005B18: 0AF4F4FA FF00AAFA
	v_mul_f32_dpp v123, v250, v123 quad_perm:[3,3,3,3] row_mask:0xf bank_mask:0xf// 000000005B20: 0AF6F6FA FF00FFFA
	v_mul_f32_dpp v124, v251, v124 quad_perm:[0,0,0,0] row_mask:0xf bank_mask:0xf// 000000005B28: 0AF8F8FA FF0000FB
	v_mul_f32_dpp v125, v251, v125 quad_perm:[1,1,1,1] row_mask:0xf bank_mask:0xf// 000000005B30: 0AFAFAFA FF0055FB
	v_mul_f32_dpp v126, v251, v126 quad_perm:[2,2,2,2] row_mask:0xf bank_mask:0xf// 000000005B38: 0AFCFCFA FF00AAFB
	v_mul_f32_dpp v127, v251, v127 quad_perm:[3,3,3,3] row_mask:0xf bank_mask:0xf// 000000005B40: 0AFEFEFA FF00FFFB
	s_and_b32 s60, s72, 0xff                                   // 000000005B48: 863CFF48 000000FF
	v_mov_b32_e32 v65, s60                                     // 000000005B50: 7E82023C
	v_lshrrev_b32_e32 v240, 4, v0                              // 000000005B54: 21E00084
	v_mul_i32_i24_e32 v240, 4, v240                            // 000000005B58: 0DE1E084
	s_mul_i32 s60, s7, 16                                      // 000000005B5C: 923C9007
	v_add_u32_e32 v240, s60, v240                              // 000000005B60: 69E1E03C
	v_add_u32_e32 v241, 1, v240                                // 000000005B64: 69E3E081
	v_add_u32_e32 v242, 2, v240                                // 000000005B68: 69E5E082
	v_add_u32_e32 v243, 3, v240                                // 000000005B6C: 69E7E083
	v_mov_b32_e32 v64, 0xff800000                              // 000000005B70: 7E8002FF FF800000
	v_cmp_lt_u32_e64 s[40:41], v240, v65                       // 000000005B78: D0C90028 000283F0
	v_add_u32_e32 v240, 64, v240                               // 000000005B80: 69E1E0C0
	s_nop 0                                                    // 000000005B84: BF800000
	v_cndmask_b32_e64 v112, v64, v112, s[40:41]                // 000000005B88: D1000070 00A2E140
	v_cmp_lt_u32_e64 s[40:41], v241, v65                       // 000000005B90: D0C90028 000283F1
	v_add_u32_e32 v241, 64, v241                               // 000000005B98: 69E3E2C0
	s_nop 0                                                    // 000000005B9C: BF800000
	v_cndmask_b32_e64 v113, v64, v113, s[40:41]                // 000000005BA0: D1000071 00A2E340
	v_cmp_lt_u32_e64 s[40:41], v242, v65                       // 000000005BA8: D0C90028 000283F2
	v_add_u32_e32 v242, 64, v242                               // 000000005BB0: 69E5E4C0
	s_nop 0                                                    // 000000005BB4: BF800000
	v_cndmask_b32_e64 v114, v64, v114, s[40:41]                // 000000005BB8: D1000072 00A2E540
	v_cmp_lt_u32_e64 s[40:41], v243, v65                       // 000000005BC0: D0C90028 000283F3
	v_add_u32_e32 v243, 64, v243                               // 000000005BC8: 69E7E6C0
	s_nop 0                                                    // 000000005BCC: BF800000
	v_cndmask_b32_e64 v115, v64, v115, s[40:41]                // 000000005BD0: D1000073 00A2E740
	v_cmp_lt_u32_e64 s[40:41], v240, v65                       // 000000005BD8: D0C90028 000283F0
	v_add_u32_e32 v240, 64, v240                               // 000000005BE0: 69E1E0C0
	s_nop 0                                                    // 000000005BE4: BF800000
	v_cndmask_b32_e64 v116, v64, v116, s[40:41]                // 000000005BE8: D1000074 00A2E940
	v_cmp_lt_u32_e64 s[40:41], v241, v65                       // 000000005BF0: D0C90028 000283F1
	v_add_u32_e32 v241, 64, v241                               // 000000005BF8: 69E3E2C0
	s_nop 0                                                    // 000000005BFC: BF800000
	v_cndmask_b32_e64 v117, v64, v117, s[40:41]                // 000000005C00: D1000075 00A2EB40
	v_cmp_lt_u32_e64 s[40:41], v242, v65                       // 000000005C08: D0C90028 000283F2
	v_add_u32_e32 v242, 64, v242                               // 000000005C10: 69E5E4C0
	s_nop 0                                                    // 000000005C14: BF800000
	v_cndmask_b32_e64 v118, v64, v118, s[40:41]                // 000000005C18: D1000076 00A2ED40
	v_cmp_lt_u32_e64 s[40:41], v243, v65                       // 000000005C20: D0C90028 000283F3
	v_add_u32_e32 v243, 64, v243                               // 000000005C28: 69E7E6C0
	s_nop 0                                                    // 000000005C2C: BF800000
	v_cndmask_b32_e64 v119, v64, v119, s[40:41]                // 000000005C30: D1000077 00A2EF40
	v_cmp_lt_u32_e64 s[40:41], v240, v65                       // 000000005C38: D0C90028 000283F0
	v_add_u32_e32 v240, 64, v240                               // 000000005C40: 69E1E0C0
	s_nop 0                                                    // 000000005C44: BF800000
	v_cndmask_b32_e64 v120, v64, v120, s[40:41]                // 000000005C48: D1000078 00A2F140
	v_cmp_lt_u32_e64 s[40:41], v241, v65                       // 000000005C50: D0C90028 000283F1
	v_add_u32_e32 v241, 64, v241                               // 000000005C58: 69E3E2C0
	s_nop 0                                                    // 000000005C5C: BF800000
	v_cndmask_b32_e64 v121, v64, v121, s[40:41]                // 000000005C60: D1000079 00A2F340
	v_cmp_lt_u32_e64 s[40:41], v242, v65                       // 000000005C68: D0C90028 000283F2
	v_add_u32_e32 v242, 64, v242                               // 000000005C70: 69E5E4C0
	s_nop 0                                                    // 000000005C74: BF800000
	v_cndmask_b32_e64 v122, v64, v122, s[40:41]                // 000000005C78: D100007A 00A2F540
	v_cmp_lt_u32_e64 s[40:41], v243, v65                       // 000000005C80: D0C90028 000283F3
	v_add_u32_e32 v243, 64, v243                               // 000000005C88: 69E7E6C0
	s_nop 0                                                    // 000000005C8C: BF800000
	v_cndmask_b32_e64 v123, v64, v123, s[40:41]                // 000000005C90: D100007B 00A2F740
	v_cmp_lt_u32_e64 s[40:41], v240, v65                       // 000000005C98: D0C90028 000283F0
	v_add_u32_e32 v240, 64, v240                               // 000000005CA0: 69E1E0C0
	s_nop 0                                                    // 000000005CA4: BF800000
	v_cndmask_b32_e64 v124, v64, v124, s[40:41]                // 000000005CA8: D100007C 00A2F940
	v_cmp_lt_u32_e64 s[40:41], v241, v65                       // 000000005CB0: D0C90028 000283F1
	v_add_u32_e32 v241, 64, v241                               // 000000005CB8: 69E3E2C0
	s_nop 0                                                    // 000000005CBC: BF800000
	v_cndmask_b32_e64 v125, v64, v125, s[40:41]                // 000000005CC0: D100007D 00A2FB40
	v_cmp_lt_u32_e64 s[40:41], v242, v65                       // 000000005CC8: D0C90028 000283F2
	v_add_u32_e32 v242, 64, v242                               // 000000005CD0: 69E5E4C0
	s_nop 0                                                    // 000000005CD4: BF800000
	v_cndmask_b32_e64 v126, v64, v126, s[40:41]                // 000000005CD8: D100007E 00A2FD40
	v_cmp_lt_u32_e64 s[40:41], v243, v65                       // 000000005CE0: D0C90028 000283F3
	v_add_u32_e32 v243, 64, v243                               // 000000005CE8: 69E7E6C0
	s_nop 0                                                    // 000000005CEC: BF800000
	v_cndmask_b32_e64 v127, v64, v127, s[40:41]                // 000000005CF0: D100007F 00A2FF40
	v_mov_b32_e32 v48, v112                                    // 000000005CF8: 7E600370
	v_max3_f32 v48, v112, v113, v48                            // 000000005CFC: D1D30030 04C2E370
	v_max3_f32 v48, v114, v115, v48                            // 000000005D04: D1D30030 04C2E772
	v_max3_f32 v48, v116, v117, v48                            // 000000005D0C: D1D30030 04C2EB74
	v_max3_f32 v48, v118, v119, v48                            // 000000005D14: D1D30030 04C2EF76
	v_max3_f32 v48, v120, v121, v48                            // 000000005D1C: D1D30030 04C2F378
	v_max3_f32 v48, v122, v123, v48                            // 000000005D24: D1D30030 04C2F77A
	v_max3_f32 v48, v124, v125, v48                            // 000000005D2C: D1D30030 04C2FB7C
	v_max3_f32 v48, v126, v127, v48                            // 000000005D34: D1D30030 04C2FF7E
	ds_write_b32 v8, v48 offset:16896                          // 000000005D3C: D81A4200 00003008
	v_mul_u32_u24_dpp v64, v16, v54 row_newbcast:1 row_mask:0xf bank_mask:0xf// 000000005D44: 10806CFA FF015110
	v_mul_u32_u24_dpp v65, v16, v54 row_newbcast:5 row_mask:0xf bank_mask:0xf// 000000005D4C: 10826CFA FF015510
	v_mul_u32_u24_dpp v66, v16, v54 row_newbcast:9 row_mask:0xf bank_mask:0xf// 000000005D54: 10846CFA FF015910
	v_mul_u32_u24_dpp v67, v16, v54 row_newbcast:13 row_mask:0xf bank_mask:0xf// 000000005D5C: 10866CFA FF015D10
	v_add_u32_e32 v30, v64, v6                                 // 000000005D64: 683C0D40
	v_add_u32_e32 v31, v65, v6                                 // 000000005D68: 683E0D41
	v_add_u32_e32 v32, v66, v6                                 // 000000005D6C: 68400D42
	v_add_u32_e32 v33, v67, v6                                 // 000000005D70: 68420D43
	v_mul_f32_e32 v208, v49, v208                              // 000000005D74: 0BA1A131
	v_mul_f32_e32 v209, v49, v209                              // 000000005D78: 0BA3A331
	v_mul_f32_e32 v210, v49, v210                              // 000000005D7C: 0BA5A531
	v_mul_f32_e32 v211, v49, v211                              // 000000005D80: 0BA7A731
	v_mul_f32_e32 v212, v49, v212                              // 000000005D84: 0BA9A931
	v_mul_f32_e32 v213, v49, v213                              // 000000005D88: 0BABAB31
	v_mul_f32_e32 v214, v49, v214                              // 000000005D8C: 0BADAD31
	v_mul_f32_e32 v215, v49, v215                              // 000000005D90: 0BAFAF31
	s_waitcnt lgkmcnt(0)                                       // 000000005D94: BF8CC07F
	s_barrier                                                  // 000000005D98: BF8A0000
	ds_read_b32 v64, v7 offset:16896                           // 000000005D9C: D86C4200 40000007
	ds_read_b32 v65, v7 offset:16960                           // 000000005DA4: D86C4240 41000007
	ds_read_b32 v66, v7 offset:17024                           // 000000005DAC: D86C4280 42000007
	ds_read_b32 v67, v7 offset:17088                           // 000000005DB4: D86C42C0 43000007
	ds_read_b32 v68, v7 offset:17152                           // 000000005DBC: D86C4300 44000007
	ds_read_b32 v69, v7 offset:17216                           // 000000005DC4: D86C4340 45000007
	ds_read_b32 v70, v7 offset:17280                           // 000000005DCC: D86C4380 46000007
	ds_read_b32 v71, v7 offset:17344                           // 000000005DD4: D86C43C0 47000007
	ds_read_b32 v72, v7 offset:17408                           // 000000005DDC: D86C4400 48000007
	ds_read_b32 v73, v7 offset:17472                           // 000000005DE4: D86C4440 49000007
	ds_read_b32 v74, v7 offset:17536                           // 000000005DEC: D86C4480 4A000007
	ds_read_b32 v75, v7 offset:17600                           // 000000005DF4: D86C44C0 4B000007
	ds_read_b32 v76, v7 offset:17664                           // 000000005DFC: D86C4500 4C000007
	ds_read_b32 v77, v7 offset:17728                           // 000000005E04: D86C4540 4D000007
	ds_read_b32 v78, v7 offset:17792                           // 000000005E0C: D86C4580 4E000007
	ds_read_b32 v79, v7 offset:17856                           // 000000005E14: D86C45C0 4F000007
	v_mul_f32_e32 v176, v44, v176                              // 000000005E1C: 0B61612C
	v_mul_f32_e32 v177, v44, v177                              // 000000005E20: 0B63632C
	v_mul_f32_e32 v178, v44, v178                              // 000000005E24: 0B65652C
	v_mul_f32_e32 v179, v44, v179                              // 000000005E28: 0B67672C
	v_mul_f32_e32 v180, v44, v180                              // 000000005E2C: 0B69692C
	v_mul_f32_e32 v181, v44, v181                              // 000000005E30: 0B6B6B2C
	v_mul_f32_e32 v182, v44, v182                              // 000000005E34: 0B6D6D2C
	v_mul_f32_e32 v183, v44, v183                              // 000000005E38: 0B6F6F2C
	s_waitcnt lgkmcnt(0)                                       // 000000005E3C: BF8CC07F
	v_max3_f32 v48, v64, v65, v48                              // 000000005E40: D1D30030 04C28340
	v_max3_f32 v48, v66, v67, v48                              // 000000005E48: D1D30030 04C28742
	v_max3_f32 v48, v68, v69, v48                              // 000000005E50: D1D30030 04C28B44
	v_max3_f32 v48, v70, v71, v48                              // 000000005E58: D1D30030 04C28F46
	v_max3_f32 v48, v72, v73, v48                              // 000000005E60: D1D30030 04C29348
	v_max3_f32 v48, v74, v75, v48                              // 000000005E68: D1D30030 04C2974A
	v_max3_f32 v48, v76, v77, v48                              // 000000005E70: D1D30030 04C29B4C
	v_max3_f32 v48, v78, v79, v48                              // 000000005E78: D1D30030 04C29F4E
	v_mov_b32_e32 v64, 0xff800000                              // 000000005E80: 7E8002FF FF800000
	v_cmp_eq_u32_e64 s[40:41], v64, v11                        // 000000005E88: D0CA0028 00021740
	s_nop 1                                                    // 000000005E90: BF800001
	v_max_f32_e32 v15, v48, v11                                // 000000005E94: 161E1730
	v_mul_f32_e32 v53, s64, v15                                // 000000005E98: 0A6A1E40
	v_fma_f32 v112, v112, s64, -v53                            // 000000005E9C: D1CB0070 84D48170
	v_fma_f32 v113, v113, s64, -v53                            // 000000005EA4: D1CB0071 84D48171
	v_fma_f32 v114, v114, s64, -v53                            // 000000005EAC: D1CB0072 84D48172
	v_fma_f32 v115, v115, s64, -v53                            // 000000005EB4: D1CB0073 84D48173
	v_fma_f32 v116, v116, s64, -v53                            // 000000005EBC: D1CB0074 84D48174
	v_fma_f32 v117, v117, s64, -v53                            // 000000005EC4: D1CB0075 84D48175
	v_fma_f32 v118, v118, s64, -v53                            // 000000005ECC: D1CB0076 84D48176
	v_fma_f32 v119, v119, s64, -v53                            // 000000005ED4: D1CB0077 84D48177
	v_fma_f32 v120, v120, s64, -v53                            // 000000005EDC: D1CB0078 84D48178
	v_fma_f32 v121, v121, s64, -v53                            // 000000005EE4: D1CB0079 84D48179
	v_fma_f32 v122, v122, s64, -v53                            // 000000005EEC: D1CB007A 84D4817A
	v_fma_f32 v123, v123, s64, -v53                            // 000000005EF4: D1CB007B 84D4817B
	v_fma_f32 v124, v124, s64, -v53                            // 000000005EFC: D1CB007C 84D4817C
	v_fma_f32 v125, v125, s64, -v53                            // 000000005F04: D1CB007D 84D4817D
	v_fma_f32 v126, v126, s64, -v53                            // 000000005F0C: D1CB007E 84D4817E
	v_fma_f32 v127, v127, s64, -v53                            // 000000005F14: D1CB007F 84D4817F
	v_exp_f32_e32 v112, v112                                   // 000000005F1C: 7EE04170
	v_exp_f32_e32 v113, v113                                   // 000000005F20: 7EE24171
	v_exp_f32_e32 v114, v114                                   // 000000005F24: 7EE44172
	v_exp_f32_e32 v115, v115                                   // 000000005F28: 7EE64173
	v_exp_f32_e32 v116, v116                                   // 000000005F2C: 7EE84174
	v_exp_f32_e32 v117, v117                                   // 000000005F30: 7EEA4175
	v_exp_f32_e32 v118, v118                                   // 000000005F34: 7EEC4176
	v_exp_f32_e32 v119, v119                                   // 000000005F38: 7EEE4177
	v_exp_f32_e32 v120, v120                                   // 000000005F3C: 7EF04178
	v_exp_f32_e32 v121, v121                                   // 000000005F40: 7EF24179
	v_exp_f32_e32 v122, v122                                   // 000000005F44: 7EF4417A
	v_exp_f32_e32 v123, v123                                   // 000000005F48: 7EF6417B
	v_exp_f32_e32 v124, v124                                   // 000000005F4C: 7EF8417C
	v_exp_f32_e32 v125, v125                                   // 000000005F50: 7EFA417D
	v_exp_f32_e32 v126, v126                                   // 000000005F54: 7EFC417E
	v_exp_f32_e32 v127, v127                                   // 000000005F58: 7EFE417F
	v_mul_f32_dpp v240, v252, v112 quad_perm:[0,0,0,0] row_mask:0xf bank_mask:0xf// 000000005F5C: 0BE0E0FA FF0000FC
	v_mul_f32_dpp v241, v252, v113 quad_perm:[1,1,1,1] row_mask:0xf bank_mask:0xf// 000000005F64: 0BE2E2FA FF0055FC
	v_mul_f32_dpp v242, v252, v114 quad_perm:[2,2,2,2] row_mask:0xf bank_mask:0xf// 000000005F6C: 0BE4E4FA FF00AAFC
	v_mul_f32_dpp v243, v252, v115 quad_perm:[3,3,3,3] row_mask:0xf bank_mask:0xf// 000000005F74: 0BE6E6FA FF00FFFC
	v_mul_f32_dpp v244, v253, v116 quad_perm:[0,0,0,0] row_mask:0xf bank_mask:0xf// 000000005F7C: 0BE8E8FA FF0000FD
	v_mul_f32_dpp v245, v253, v117 quad_perm:[1,1,1,1] row_mask:0xf bank_mask:0xf// 000000005F84: 0BEAEAFA FF0055FD
	v_mul_f32_dpp v246, v253, v118 quad_perm:[2,2,2,2] row_mask:0xf bank_mask:0xf// 000000005F8C: 0BECECFA FF00AAFD
	v_mul_f32_dpp v247, v253, v119 quad_perm:[3,3,3,3] row_mask:0xf bank_mask:0xf// 000000005F94: 0BEEEEFA FF00FFFD
	v_mul_f32_dpp v248, v254, v120 quad_perm:[0,0,0,0] row_mask:0xf bank_mask:0xf// 000000005F9C: 0BF0F0FA FF0000FE
	v_mul_f32_dpp v249, v254, v121 quad_perm:[1,1,1,1] row_mask:0xf bank_mask:0xf// 000000005FA4: 0BF2F2FA FF0055FE
	v_mul_f32_dpp v250, v254, v122 quad_perm:[2,2,2,2] row_mask:0xf bank_mask:0xf// 000000005FAC: 0BF4F4FA FF00AAFE
	v_mul_f32_dpp v251, v254, v123 quad_perm:[3,3,3,3] row_mask:0xf bank_mask:0xf// 000000005FB4: 0BF6F6FA FF00FFFE
	v_mul_f32_dpp v252, v255, v124 quad_perm:[0,0,0,0] row_mask:0xf bank_mask:0xf// 000000005FBC: 0BF8F8FA FF0000FF
	v_mul_f32_dpp v253, v255, v125 quad_perm:[1,1,1,1] row_mask:0xf bank_mask:0xf// 000000005FC4: 0BFAFAFA FF0055FF
	v_mul_f32_dpp v254, v255, v126 quad_perm:[2,2,2,2] row_mask:0xf bank_mask:0xf// 000000005FCC: 0BFCFCFA FF00AAFF
	v_mul_f32_dpp v255, v255, v127 quad_perm:[3,3,3,3] row_mask:0xf bank_mask:0xf// 000000005FD4: 0BFEFEFA FF00FFFF
	v_mov_b32_e32 v48, 0x358637bd                              // 000000005FDC: 7E6002FF 358637BD
	v_max3_f32 v48, |v240|, |v241|, v48                        // 000000005FE4: D1D30330 04C3E3F0
	v_max3_f32 v48, |v242|, |v243|, v48                        // 000000005FEC: D1D30330 04C3E7F2
	v_max3_f32 v48, |v244|, |v245|, v48                        // 000000005FF4: D1D30330 04C3EBF4
	v_max3_f32 v48, |v246|, |v247|, v48                        // 000000005FFC: D1D30330 04C3EFF6
	v_max3_f32 v48, |v248|, |v249|, v48                        // 000000006004: D1D30330 04C3F3F8
	v_max3_f32 v48, |v250|, |v251|, v48                        // 00000000600C: D1D30330 04C3F7FA
	v_max3_f32 v48, |v252|, |v253|, v48                        // 000000006014: D1D30330 04C3FBFC
	v_max3_f32 v48, |v254|, |v255|, v48                        // 00000000601C: D1D30330 04C3FFFE
	ds_write_b32 v8, v48 offset:20992                          // 000000006024: D81A5200 00003008
	v_sub_f32_e32 v49, v11, v15                                // 00000000602C: 04621F0B
	v_cndmask_b32_e64 v49, v49, 0, s[40:41]                    // 000000006030: D1000031 00A10131
	v_mov_b32_e32 v11, v15                                     // 000000006038: 7E16030F
	v_mul_f32_e32 v49, s64, v49                                // 00000000603C: 0A626240
	v_exp_f32_e32 v49, v49                                     // 000000006040: 7E624131
	s_waitcnt lgkmcnt(0)                                       // 000000006044: BF8CC07F
	s_barrier                                                  // 000000006048: BF8A0000
	ds_read_b32 v64, v7 offset:20992                           // 00000000604C: D86C5200 40000007
	ds_read_b32 v65, v7 offset:21056                           // 000000006054: D86C5240 41000007
	ds_read_b32 v66, v7 offset:21120                           // 00000000605C: D86C5280 42000007
	ds_read_b32 v67, v7 offset:21184                           // 000000006064: D86C52C0 43000007
	ds_read_b32 v68, v7 offset:21248                           // 00000000606C: D86C5300 44000007
	ds_read_b32 v69, v7 offset:21312                           // 000000006074: D86C5340 45000007
	ds_read_b32 v70, v7 offset:21376                           // 00000000607C: D86C5380 46000007
	ds_read_b32 v71, v7 offset:21440                           // 000000006084: D86C53C0 47000007
	ds_read_b32 v72, v7 offset:21504                           // 00000000608C: D86C5400 48000007
	ds_read_b32 v73, v7 offset:21568                           // 000000006094: D86C5440 49000007
	ds_read_b32 v74, v7 offset:21632                           // 00000000609C: D86C5480 4A000007
	ds_read_b32 v75, v7 offset:21696                           // 0000000060A4: D86C54C0 4B000007
	ds_read_b32 v76, v7 offset:21760                           // 0000000060AC: D86C5500 4C000007
	ds_read_b32 v77, v7 offset:21824                           // 0000000060B4: D86C5540 4D000007
	ds_read_b32 v78, v7 offset:21888                           // 0000000060BC: D86C5580 4E000007
	ds_read_b32 v79, v7 offset:21952                           // 0000000060C4: D86C55C0 4F000007
	v_mul_f32_e32 v38, v49, v38                                // 0000000060CC: 0A4C4D31
	v_mov_b32_e32 v15, v112                                    // 0000000060D0: 7E1E0370
	v_add_f32_e32 v15, v113, v15                               // 0000000060D4: 021E1F71
	v_add_f32_e32 v15, v114, v15                               // 0000000060D8: 021E1F72
	v_add_f32_e32 v15, v115, v15                               // 0000000060DC: 021E1F73
	v_add_f32_e32 v15, v116, v15                               // 0000000060E0: 021E1F74
	v_add_f32_e32 v15, v117, v15                               // 0000000060E4: 021E1F75
	v_add_f32_e32 v15, v118, v15                               // 0000000060E8: 021E1F76
	v_add_f32_e32 v15, v119, v15                               // 0000000060EC: 021E1F77
	v_add_f32_e32 v15, v120, v15                               // 0000000060F0: 021E1F78
	v_add_f32_e32 v15, v121, v15                               // 0000000060F4: 021E1F79
	v_add_f32_e32 v15, v122, v15                               // 0000000060F8: 021E1F7A
	v_add_f32_e32 v15, v123, v15                               // 0000000060FC: 021E1F7B
	v_add_f32_e32 v15, v124, v15                               // 000000006100: 021E1F7C
	v_add_f32_e32 v15, v125, v15                               // 000000006104: 021E1F7D
	v_add_f32_e32 v15, v126, v15                               // 000000006108: 021E1F7E
	v_add_f32_e32 v15, v127, v15                               // 00000000610C: 021E1F7F
	v_add_f32_e32 v38, v15, v38                                // 000000006110: 024C4D0F
	s_waitcnt lgkmcnt(0)                                       // 000000006114: BF8CC07F
	v_max3_f32 v48, |v64|, |v65|, v48                          // 000000006118: D1D30330 04C28340
	v_max3_f32 v48, |v66|, |v67|, v48                          // 000000006120: D1D30330 04C28742
	v_max3_f32 v48, |v68|, |v69|, v48                          // 000000006128: D1D30330 04C28B44
	v_max3_f32 v48, |v70|, |v71|, v48                          // 000000006130: D1D30330 04C28F46
	v_max3_f32 v48, |v72|, |v73|, v48                          // 000000006138: D1D30330 04C29348
	v_max3_f32 v48, |v74|, |v75|, v48                          // 000000006140: D1D30330 04C2974A
	v_max3_f32 v48, |v76|, |v77|, v48                          // 000000006148: D1D30330 04C29B4C
	v_max3_f32 v48, |v78|, |v79|, v48                          // 000000006150: D1D30330 04C29F4E
	s_nop 2                                                    // 000000006158: BF800002
	v_rcp_f32_e32 v48, v48                                     // 00000000615C: 7E604530
	s_nop 1                                                    // 000000006160: BF800001
	v_mul_f32_e32 v48, 0x43e00000, v48                         // 000000006164: 0A6060FF 43E00000
	v_mul_f32_e32 v112, v48, v240                              // 00000000616C: 0AE1E130
	v_mul_f32_e32 v113, v48, v241                              // 000000006170: 0AE3E330
	v_mul_f32_e32 v114, v48, v242                              // 000000006174: 0AE5E530
	v_mul_f32_e32 v115, v48, v243                              // 000000006178: 0AE7E730
	v_mul_f32_e32 v116, v48, v244                              // 00000000617C: 0AE9E930
	v_mul_f32_e32 v117, v48, v245                              // 000000006180: 0AEBEB30
	v_mul_f32_e32 v118, v48, v246                              // 000000006184: 0AEDED30
	v_mul_f32_e32 v119, v48, v247                              // 000000006188: 0AEFEF30
	v_mul_f32_e32 v120, v48, v248                              // 00000000618C: 0AF1F130
	v_mul_f32_e32 v121, v48, v249                              // 000000006190: 0AF3F330
	v_mul_f32_e32 v122, v48, v250                              // 000000006194: 0AF5F530
	v_mul_f32_e32 v123, v48, v251                              // 000000006198: 0AF7F730
	v_mul_f32_e32 v124, v48, v252                              // 00000000619C: 0AF9F930
	v_mul_f32_e32 v125, v48, v253                              // 0000000061A0: 0AFBFB30
	v_mul_f32_e32 v126, v48, v254                              // 0000000061A4: 0AFDFD30
	v_mul_f32_e32 v127, v48, v255                              // 0000000061A8: 0AFFFF30
	v_cvt_pk_fp8_f32 v112, v112, v113                          // 0000000061AC: D2A20070 0002E370
	v_cvt_pk_fp8_f32 v112, v114, v115 op_sel:[0,0,1]           // 0000000061B4: D2A24070 0002E772
	v_cvt_pk_fp8_f32 v113, v116, v117                          // 0000000061BC: D2A20071 0002EB74
	v_cvt_pk_fp8_f32 v113, v118, v119 op_sel:[0,0,1]           // 0000000061C4: D2A24071 0002EF76
	v_cvt_pk_fp8_f32 v114, v120, v121                          // 0000000061CC: D2A20072 0002F378
	v_cvt_pk_fp8_f32 v114, v122, v123 op_sel:[0,0,1]           // 0000000061D4: D2A24072 0002F77A
	v_cvt_pk_fp8_f32 v115, v124, v125                          // 0000000061DC: D2A20073 0002FB7C
	v_cvt_pk_fp8_f32 v115, v126, v127 op_sel:[0,0,1]           // 0000000061E4: D2A24073 0002FF7E
	ds_write_b32 v10, v112 offset:25088                        // 0000000061EC: D81A6200 0000700A
	ds_write_b32 v10, v113 offset:26112                        // 0000000061F4: D81A6600 0000710A
	ds_write_b32 v10, v114 offset:27136                        // 0000000061FC: D81A6A00 0000720A
	ds_write_b32 v10, v115 offset:28160                        // 000000006204: D81A6E00 0000730A
	v_add_f32_e32 v208, v208, v176                             // 00000000620C: 03A161D0
	v_add_f32_e32 v209, v209, v177                             // 000000006210: 03A363D1
	v_add_f32_e32 v210, v210, v178                             // 000000006214: 03A565D2
	v_add_f32_e32 v211, v211, v179                             // 000000006218: 03A767D3
	v_add_f32_e32 v212, v212, v180                             // 00000000621C: 03A969D4
	v_add_f32_e32 v213, v213, v181                             // 000000006220: 03AB6BD5
	v_add_f32_e32 v214, v214, v182                             // 000000006224: 03AD6DD6
	v_add_f32_e32 v215, v215, v183                             // 000000006228: 03AF6FD7
	v_rcp_f32_e32 v44, v48                                     // 00000000622C: 7E584530
	s_waitcnt lgkmcnt(0)                                       // 000000006230: BF8CC07F
	s_barrier                                                  // 000000006234: BF8A0000
	ds_read_b64 v[112:113], v9 offset:25088                    // 000000006238: D8EC6200 70000009
	ds_read_b64 v[114:115], v9 offset:25216                    // 000000006240: D8EC6280 72000009
	ds_read_b64 v[116:117], v9 offset:26112                    // 000000006248: D8EC6600 74000009
	ds_read_b64 v[118:119], v9 offset:26240                    // 000000006250: D8EC6680 76000009
	ds_read_b64 v[120:121], v9 offset:27136                    // 000000006258: D8EC6A00 78000009
	ds_read_b64 v[122:123], v9 offset:27264                    // 000000006260: D8EC6A80 7A000009
	ds_read_b64 v[124:125], v9 offset:28160                    // 000000006268: D8EC6E00 7C000009
	ds_read_b64 v[126:127], v9 offset:28288                    // 000000006270: D8EC6E80 7E000009
	s_waitcnt vmcnt(0)                                         // 000000006278: BF8C0F70
	s_barrier                                                  // 00000000627C: BF8A0000
	s_waitcnt lgkmcnt(7)                                       // 000000006280: BF8CC77F
	v_mfma_f32_16x16x32_fp8_fp8 v[176:179], a[96:97], v[112:113], 0// 000000006284: D3F300B0 0A02E160
	s_waitcnt lgkmcnt(6)                                       // 00000000628C: BF8CC67F
	v_mfma_f32_16x16x32_fp8_fp8 v[176:179], a[98:99], v[114:115], v[176:179]// 000000006290: D3F300B0 0EC2E562
	s_waitcnt lgkmcnt(5)                                       // 000000006298: BF8CC57F
	v_mfma_f32_16x16x32_fp8_fp8 v[176:179], a[100:101], v[116:117], v[176:179]// 00000000629C: D3F300B0 0EC2E964
	s_waitcnt lgkmcnt(4)                                       // 0000000062A4: BF8CC47F
	v_mfma_f32_16x16x32_fp8_fp8 v[176:179], a[102:103], v[118:119], v[176:179]// 0000000062A8: D3F300B0 0EC2ED66
	s_waitcnt lgkmcnt(3)                                       // 0000000062B0: BF8CC37F
	v_mfma_f32_16x16x32_fp8_fp8 v[176:179], a[104:105], v[120:121], v[176:179]// 0000000062B4: D3F300B0 0EC2F168
	s_waitcnt lgkmcnt(2)                                       // 0000000062BC: BF8CC27F
	v_mfma_f32_16x16x32_fp8_fp8 v[176:179], a[106:107], v[122:123], v[176:179]// 0000000062C0: D3F300B0 0EC2F56A
	s_waitcnt lgkmcnt(1)                                       // 0000000062C8: BF8CC17F
	v_mfma_f32_16x16x32_fp8_fp8 v[176:179], a[108:109], v[124:125], v[176:179]// 0000000062CC: D3F300B0 0EC2F96C
	s_waitcnt lgkmcnt(0)                                       // 0000000062D4: BF8CC07F
	v_mfma_f32_16x16x32_fp8_fp8 v[176:179], a[110:111], v[126:127], v[176:179]// 0000000062D8: D3F300B0 0EC2FD6E
	v_mfma_f32_16x16x32_fp8_fp8 v[180:183], a[112:113], v[112:113], 0// 0000000062E0: D3F300B4 0A02E170
	v_mfma_f32_16x16x32_fp8_fp8 v[180:183], a[114:115], v[114:115], v[180:183]// 0000000062E8: D3F300B4 0ED2E572
	v_mfma_f32_16x16x32_fp8_fp8 v[180:183], a[116:117], v[116:117], v[180:183]// 0000000062F0: D3F300B4 0ED2E974
	v_mfma_f32_16x16x32_fp8_fp8 v[180:183], a[118:119], v[118:119], v[180:183]// 0000000062F8: D3F300B4 0ED2ED76
	v_mfma_f32_16x16x32_fp8_fp8 v[180:183], a[120:121], v[120:121], v[180:183]// 000000006300: D3F300B4 0ED2F178
	v_mfma_f32_16x16x32_fp8_fp8 v[180:183], a[122:123], v[122:123], v[180:183]// 000000006308: D3F300B4 0ED2F57A
	v_mfma_f32_16x16x32_fp8_fp8 v[180:183], a[124:125], v[124:125], v[180:183]// 000000006310: D3F300B4 0ED2F97C
	v_mfma_f32_16x16x32_fp8_fp8 v[180:183], a[126:127], v[126:127], v[180:183]// 000000006318: D3F300B4 0ED2FD7E
	s_nop 4                                                    // 000000006320: BF800004
	s_branch label_104A                                        // 000000006324: BF820000

0000000000006328 <label_104A>:
	v_mul_f32_e32 v208, v49, v208                              // 000000006328: 0BA1A131
	v_mul_f32_e32 v209, v49, v209                              // 00000000632C: 0BA3A331
	v_mul_f32_e32 v210, v49, v210                              // 000000006330: 0BA5A531
	v_mul_f32_e32 v211, v49, v211                              // 000000006334: 0BA7A731
	v_mul_f32_e32 v212, v49, v212                              // 000000006338: 0BA9A931
	v_mul_f32_e32 v213, v49, v213                              // 00000000633C: 0BABAB31
	v_mul_f32_e32 v214, v49, v214                              // 000000006340: 0BADAD31
	v_mul_f32_e32 v215, v49, v215                              // 000000006344: 0BAFAF31
	v_mul_f32_e32 v176, v44, v176                              // 000000006348: 0B61612C
	v_mul_f32_e32 v177, v44, v177                              // 00000000634C: 0B63632C
	v_mul_f32_e32 v178, v44, v178                              // 000000006350: 0B65652C
	v_mul_f32_e32 v179, v44, v179                              // 000000006354: 0B67672C
	v_mul_f32_e32 v180, v44, v180                              // 000000006358: 0B69692C
	v_mul_f32_e32 v181, v44, v181                              // 00000000635C: 0B6B6B2C
	v_mul_f32_e32 v182, v44, v182                              // 000000006360: 0B6D6D2C
	v_mul_f32_e32 v183, v44, v183                              // 000000006364: 0B6F6F2C
	v_add_f32_e32 v208, v208, v176                             // 000000006368: 03A161D0
	v_add_f32_e32 v209, v209, v177                             // 00000000636C: 03A363D1
	v_add_f32_e32 v210, v210, v178                             // 000000006370: 03A565D2
	v_add_f32_e32 v211, v211, v179                             // 000000006374: 03A767D3
	v_add_f32_e32 v212, v212, v180                             // 000000006378: 03A969D4
	v_add_f32_e32 v213, v213, v181                             // 00000000637C: 03AB6BD5
	v_add_f32_e32 v214, v214, v182                             // 000000006380: 03AD6DD6
	v_add_f32_e32 v215, v215, v183                             // 000000006384: 03AF6FD7
	ds_write_b32 v8, v38 offset:16896                          // 000000006388: D81A4200 00002608
	s_waitcnt lgkmcnt(0)                                       // 000000006390: BF8CC07F
	s_barrier                                                  // 000000006394: BF8A0000
	ds_read_b32 v64, v7 offset:16896                           // 000000006398: D86C4200 40000007
	ds_read_b32 v65, v7 offset:16960                           // 0000000063A0: D86C4240 41000007
	ds_read_b32 v66, v7 offset:17024                           // 0000000063A8: D86C4280 42000007
	ds_read_b32 v67, v7 offset:17088                           // 0000000063B0: D86C42C0 43000007
	ds_read_b32 v68, v7 offset:17152                           // 0000000063B8: D86C4300 44000007
	ds_read_b32 v69, v7 offset:17216                           // 0000000063C0: D86C4340 45000007
	ds_read_b32 v70, v7 offset:17280                           // 0000000063C8: D86C4380 46000007
	ds_read_b32 v71, v7 offset:17344                           // 0000000063D0: D86C43C0 47000007
	ds_read_b32 v72, v7 offset:17408                           // 0000000063D8: D86C4400 48000007
	ds_read_b32 v73, v7 offset:17472                           // 0000000063E0: D86C4440 49000007
	ds_read_b32 v74, v7 offset:17536                           // 0000000063E8: D86C4480 4A000007
	ds_read_b32 v75, v7 offset:17600                           // 0000000063F0: D86C44C0 4B000007
	ds_read_b32 v76, v7 offset:17664                           // 0000000063F8: D86C4500 4C000007
	ds_read_b32 v77, v7 offset:17728                           // 000000006400: D86C4540 4D000007
	ds_read_b32 v78, v7 offset:17792                           // 000000006408: D86C4580 4E000007
	ds_read_b32 v79, v7 offset:17856                           // 000000006410: D86C45C0 4F000007
	s_waitcnt lgkmcnt(0)                                       // 000000006418: BF8CC07F
	v_mov_b32_e32 v38, 0                                       // 00000000641C: 7E4C0280
	v_add_f32_e32 v38, v64, v38                                // 000000006420: 024C4D40
	v_add_f32_e32 v38, v65, v38                                // 000000006424: 024C4D41
	v_add_f32_e32 v38, v66, v38                                // 000000006428: 024C4D42
	v_add_f32_e32 v38, v67, v38                                // 00000000642C: 024C4D43
	v_add_f32_e32 v38, v68, v38                                // 000000006430: 024C4D44
	v_add_f32_e32 v38, v69, v38                                // 000000006434: 024C4D45
	v_add_f32_e32 v38, v70, v38                                // 000000006438: 024C4D46
	v_add_f32_e32 v38, v71, v38                                // 00000000643C: 024C4D47
	v_add_f32_e32 v38, v72, v38                                // 000000006440: 024C4D48
	v_add_f32_e32 v38, v73, v38                                // 000000006444: 024C4D49
	v_add_f32_e32 v38, v74, v38                                // 000000006448: 024C4D4A
	v_add_f32_e32 v38, v75, v38                                // 00000000644C: 024C4D4B
	v_add_f32_e32 v38, v76, v38                                // 000000006450: 024C4D4C
	v_add_f32_e32 v38, v77, v38                                // 000000006454: 024C4D4D
	v_add_f32_e32 v38, v78, v38                                // 000000006458: 024C4D4E
	v_add_f32_e32 v38, v79, v38                                // 00000000645C: 024C4D4F
	s_nop 1                                                    // 000000006460: BF800001
	v_rcp_f32_e32 v38, v38                                     // 000000006464: 7E4C4526
	s_nop 1                                                    // 000000006468: BF800001
	v_mul_f32_e32 v208, v38, v208                              // 00000000646C: 0BA1A126
	v_mul_f32_e32 v209, v38, v209                              // 000000006470: 0BA3A326
	v_mul_f32_e32 v210, v38, v210                              // 000000006474: 0BA5A526
	v_mul_f32_e32 v211, v38, v211                              // 000000006478: 0BA7A726
	v_mul_f32_e32 v212, v38, v212                              // 00000000647C: 0BA9A926
	v_mul_f32_e32 v213, v38, v213                              // 000000006480: 0BABAB26
	v_mul_f32_e32 v214, v38, v214                              // 000000006484: 0BADAD26
	v_mul_f32_e32 v215, v38, v215                              // 000000006488: 0BAFAF26
	v_mov_b32_e32 v19, 0xffff0000                              // 00000000648C: 7E2602FF FFFF0000
	v_mov_b32_e32 v20, 0x7fff0000                              // 000000006494: 7E2802FF 7FFF0000
	v_mov_b32_e32 v21, 0x7fff                                  // 00000000649C: 7E2A02FF 00007FFF
	v_cvt_pkrtz_f16_f32 v64, v208, v209                        // 0000000064A4: D2960040 0003A3D0
	v_mov_b32_e32 v208, v64                                    // 0000000064AC: 7FA00340
	v_cvt_pkrtz_f16_f32 v64, v210, v211                        // 0000000064B0: D2960040 0003A7D2
	v_mov_b32_e32 v209, v64                                    // 0000000064B8: 7FA20340
	v_cvt_pkrtz_f16_f32 v64, v212, v213                        // 0000000064BC: D2960040 0003ABD4
	v_mov_b32_e32 v210, v64                                    // 0000000064C4: 7FA40340
	v_cvt_pkrtz_f16_f32 v64, v214, v215                        // 0000000064C8: D2960040 0003AFD6
	v_mov_b32_e32 v211, v64                                    // 0000000064D0: 7FA60340
	s_nop 1                                                    // 0000000064D4: BF800001
	v_lshrrev_b32_e32 v64, 4, v0                               // 0000000064D8: 20800084
	v_mul_i32_i24_e32 v68, 34, v64                             // 0000000064DC: 0C8880A2
	v_and_b32_e32 v64, 15, v0                                  // 0000000064E0: 2680008F
	v_mul_i32_i24_e32 v65, 2, v64                              // 0000000064E4: 0C828082
	v_add_u32_e32 v68, v65, v68                                // 0000000064E8: 68888941
	s_mul_i32 s60, s7, 0x88                                    // 0000000064EC: 923CFF07 00000088
	v_add_u32_e32 v68, s60, v68                                // 0000000064F4: 6888883C
	v_lshlrev_b32_e32 v68, 2, v68                              // 0000000064F8: 24888882
	ds_write_b64 v68, v[208:209] offset:41472                  // 0000000064FC: D89AA200 0000D044
	ds_write_b64 v68, v[210:211] offset:43648                  // 000000006504: D89AAA80 0000D244
	v_lshrrev_b32_e32 v64, 1, v0                               // 00000000650C: 20800081
	v_mul_i32_i24_e32 v68, 34, v64                             // 000000006510: 0C8880A2
	v_and_b32_e32 v65, 1, v0                                   // 000000006514: 26820081
	v_add_u32_e32 v68, v65, v68                                // 000000006518: 68888941
	s_mul_i32 s60, s7, 2                                       // 00000000651C: 923C8207
	v_add_u32_e32 v68, s60, v68                                // 000000006520: 6888883C
	v_lshlrev_b32_e32 v68, 2, v68                              // 000000006524: 24888882
	s_waitcnt lgkmcnt(0)                                       // 000000006528: BF8CC07F
	s_barrier                                                  // 00000000652C: BF8A0000
	ds_read_b32 v208, v68 offset:41472                         // 000000006530: D86CA200 D0000044
	ds_read_b32 v209, v68 offset:41504                         // 000000006538: D86CA220 D1000044
	ds_read_b32 v210, v68 offset:41536                         // 000000006540: D86CA240 D2000044
	ds_read_b32 v211, v68 offset:41568                         // 000000006548: D86CA260 D3000044
	s_mul_i32 s60, s7, 0x100                                   // 000000006550: 923CFF07 00000100
	v_lshlrev_b32_e32 v64, 2, v0                               // 000000006558: 24800082
	v_add_u32_e64 v64, v64, s60                                // 00000000655C: D1340040 00007940
	s_waitcnt lgkmcnt(0)                                       // 000000006564: BF8CC07F
	buffer_store_dword v208, v64, s[8:11], 0 offen             // 000000006568: E0701000 8002D040
	buffer_store_dword v209, v64, s[8:11], 0 offen offset:1024 // 000000006570: E0701400 8002D140
	buffer_store_dword v210, v64, s[8:11], 0 offen offset:2048 // 000000006578: E0701800 8002D240
	buffer_store_dword v211, v64, s[8:11], 0 offen offset:3072 // 000000006580: E0701C00 8002D340
	s_add_u32 s8, s75, s8                                      // 000000006588: 8008084B
	s_addc_u32 s9, 0, s9                                       // 00000000658C: 82090980
	s_branch label_2EF7                                        // 000000006590: BF821E12

0000000000006594 <label_10E5>:
	s_mul_i32 s60, s3, s65                                     // 000000006594: 923C4103
	s_mul_i32 s60, s60, 4                                      // 000000006598: 923C843C
	s_add_u32 s24, s60, s24                                    // 00000000659C: 8018183C
	s_addc_u32 s25, 0, s25                                     // 0000000065A0: 82191980
	s_mov_b32 s56, 64                                          // 0000000065A4: BEB800C0
	s_add_u32 s73, s72, 15                                     // 0000000065A8: 80498F48
	s_lshr_b32 s73, s73, 4                                     // 0000000065AC: 8F498449
	s_mul_i32 s60, s73, 4                                      // 0000000065B0: 923C8449
	s_mov_b32 s26, s60                                         // 0000000065B4: BE9A003C
	v_and_b32_e32 v65, 3, v0                                   // 0000000065B8: 26820083
	v_cmp_eq_u32_e64 s[60:61], 0, v65                          // 0000000065BC: D0CA003C 00028280
	v_and_b32_e32 v64, 12, v0                                  // 0000000065C4: 2680008C
	v_add_u32_e32 v1, s7, v64                                  // 0000000065C8: 68028007
	v_cndmask_b32_e64 v1, 0, v1, s[60:61]                      // 0000000065CC: D1000001 00F20280
	v_and_b32_e32 v65, 3, v0                                   // 0000000065D4: 26820083
	v_cmp_eq_u32_e64 s[60:61], 1, v65                          // 0000000065D8: D0CA003C 00028281
	v_lshrrev_b32_e32 v64, 4, v0                               // 0000000065E0: 20800084
	v_and_b32_e32 v65, 12, v0                                  // 0000000065E4: 2682008C
	v_add_u32_e32 v64, v65, v64                                // 0000000065E8: 68808141
	v_cndmask_b32_e64 v64, 0, v64, s[60:61]                    // 0000000065EC: D1000040 00F28080
	v_add_u32_e32 v1, v1, v64                                  // 0000000065F4: 68028101
	v_lshlrev_b32_e32 v1, 2, v1                                // 0000000065F8: 24020282
	buffer_load_dword v16, v1, s[24:27], 0 offen               // 0000000065FC: E0501000 80061001
	v_add_u32_e32 v1, s56, v1                                  // 000000006604: 68020238
	buffer_load_dword v17, v1, s[24:27], 0 offen               // 000000006608: E0501000 80061101
	s_cmp_le_u32 s73, 32                                       // 000000006610: BF0BA049
	s_cselect_b32 s56, 0, s56                                  // 000000006614: 85383880
	s_mul_i32 s60, s2, s67                                     // 000000006618: 923C4302
	s_mul_i32 s61, s84, s74                                    // 00000000661C: 923D4A54
	s_add_u32 s60, s60, s61                                    // 000000006620: 803C3D3C
	s_add_u32 s12, s60, s12                                    // 000000006624: 800C0C3C
	s_addc_u32 s13, 0, s13                                     // 000000006628: 820D0D80
	s_mul_i32 s60, s7, 0x108                                   // 00000000662C: 923CFF07 00000108
	s_add_u32 m0, 0, s60                                       // 000000006634: 807C3C80
	s_mul_i32 s60, s7, 0x100                                   // 000000006638: 923CFF07 00000100
	v_lshlrev_b32_e32 v64, 2, v0                               // 000000006640: 24800082
	v_add_u32_e64 v64, v64, s60                                // 000000006644: D1340040 00007940
	v_add_u32_e32 v65, 0x400, v64                              // 00000000664C: 688280FF 00000400
	v_add_u32_e32 v66, 0x800, v64                              // 000000006654: 688480FF 00000800
	v_add_u32_e32 v67, 0xc00, v64                              // 00000000665C: 688680FF 00000C00
	buffer_load_dword v64, s[12:15], 0 offen lds               // 000000006664: E0511000 80030040
	s_mul_i32 s60, 4, 0x108                                    // 00000000666C: 923CFF84 00000108
	s_add_u32 m0, m0, s60                                      // 000000006674: 807C3C7C
	buffer_load_dword v65, s[12:15], 0 offen lds               // 000000006678: E0511000 80030041
	s_mul_i32 s60, 4, 0x108                                    // 000000006680: 923CFF84 00000108
	s_add_u32 m0, m0, s60                                      // 000000006688: 807C3C7C
	buffer_load_dword v66, s[12:15], 0 offen lds               // 00000000668C: E0511000 80030042
	s_mul_i32 s60, 4, 0x108                                    // 000000006694: 923CFF84 00000108
	s_add_u32 m0, m0, s60                                      // 00000000669C: 807C3C7C
	buffer_load_dword v67, s[12:15], 0 offen lds               // 0000000066A0: E0511000 80030043
	s_mul_i32 s60, 4, 0x108                                    // 0000000066A8: 923CFF84 00000108
	s_add_u32 m0, m0, s60                                      // 0000000066B0: 807C3C7C
	s_add_u32 s12, s74, s12                                    // 0000000066B4: 800C0C4A
	s_addc_u32 s13, 0, s13                                     // 0000000066B8: 820D0D80
	buffer_load_dword v64, s[12:15], 0 offen lds               // 0000000066BC: E0511000 80030040
	s_mul_i32 s60, 4, 0x108                                    // 0000000066C4: 923CFF84 00000108
	s_add_u32 m0, m0, s60                                      // 0000000066CC: 807C3C7C
	buffer_load_dword v65, s[12:15], 0 offen lds               // 0000000066D0: E0511000 80030041
	s_mul_i32 s60, 4, 0x108                                    // 0000000066D8: 923CFF84 00000108
	s_add_u32 m0, m0, s60                                      // 0000000066E0: 807C3C7C
	buffer_load_dword v66, s[12:15], 0 offen lds               // 0000000066E4: E0511000 80030042
	s_mul_i32 s60, 4, 0x108                                    // 0000000066EC: 923CFF84 00000108
	s_add_u32 m0, m0, s60                                      // 0000000066F4: 807C3C7C
	buffer_load_dword v67, s[12:15], 0 offen lds               // 0000000066F8: E0511000 80030043
	s_mul_i32 s60, 4, 0x108                                    // 000000006700: 923CFF84 00000108
	s_add_u32 m0, m0, s60                                      // 000000006708: 807C3C7C
	s_add_u32 s12, s74, s12                                    // 00000000670C: 800C0C4A
	s_addc_u32 s13, 0, s13                                     // 000000006710: 820D0D80
	v_lshrrev_b32_e32 v64, 4, v0                               // 000000006714: 20800084
	v_lshlrev_b32_e32 v64, 2, v64                              // 000000006718: 24808082
	v_and_b32_e32 v65, 3, v0                                   // 00000000671C: 26820083
	v_add_u32_e32 v64, v65, v64                                // 000000006720: 68808141
	v_lshlrev_b32_e32 v59, 2, v64                              // 000000006724: 24768082
	v_mov_b32_e32 v60, v59                                     // 000000006728: 7E78033B
	s_mul_i32 s60, s2, 64                                      // 00000000672C: 923CC002
	s_add_u32 s32, s60, s32                                    // 000000006730: 8020203C
	s_addc_u32 s33, 0, s33                                     // 000000006734: 82212180
	s_add_u32 s36, s60, s36                                    // 000000006738: 8024243C
	s_addc_u32 s37, 0, s37                                     // 00000000673C: 82252580
	s_mul_i32 s60, s2, s76                                     // 000000006740: 923C4C02
	s_mul_i32 s61, s84, s75                                    // 000000006744: 923D4B54
	s_add_u32 s60, s60, s61                                    // 000000006748: 803C3D3C
	s_add_u32 s8, s60, s8                                      // 00000000674C: 8008083C
	s_addc_u32 s9, 0, s9                                       // 000000006750: 82090980
	s_mov_b32 s70, 0                                           // 000000006754: BEC60080
	s_and_b32 s71, s72, 0xffffff00                             // 000000006758: 8647FF48 FFFFFF00
	s_mov_b32 s42, 0xff00ff00                                  // 000000006760: BEAA00FF FF00FF00
	s_mov_b32 s43, 0xff00ff00                                  // 000000006768: BEAB00FF FF00FF00
	s_mov_b32 s44, 0xf0f0f0f0                                  // 000000006770: BEAC00FF F0F0F0F0
	s_mov_b32 s45, 0xf0f0f0f0                                  // 000000006778: BEAD00FF F0F0F0F0
	s_mov_b32 s78, 0xff00ff                                    // 000000006780: BECE00FF 00FF00FF
	s_mov_b32 s79, 0xff00ff                                    // 000000006788: BECF00FF 00FF00FF
	v_mul_i32_i24_e64 v63, 64, s66                             // 000000006790: D106003F 000084C0
	v_mov_b32_e32 v54, s68                                     // 000000006798: 7E6C0244
	s_mov_b32 s52, 0x7060302                                   // 00000000679C: BEB400FF 07060302
	s_mov_b32 s53, 0x400                                       // 0000000067A4: BEB500FF 00000400
	s_mov_b32 s54, 0x40100                                     // 0000000067AC: BEB600FF 00040100
	s_mov_b32 s55, 0x4020100                                   // 0000000067B4: BEB700FF 04020100
	s_mov_b32 s6, 0x3fb8aa3b                                   // 0000000067BC: BE8600FF 3FB8AA3B
	v_mov_b32_e32 v11, 0xff800000                              // 0000000067C4: 7E1602FF FF800000
	v_mov_b32_e32 v12, 0xff800000                              // 0000000067CC: 7E1802FF FF800000
	v_mov_b32_e32 v49, 0                                       // 0000000067D4: 7E620280
	v_mov_b32_e32 v50, 0                                       // 0000000067D8: 7E640280
	v_mov_b32_e32 v38, 0                                       // 0000000067DC: 7E4C0280
	v_mov_b32_e32 v39, 0                                       // 0000000067E0: 7E4E0280
	v_mov_b32_e32 v44, 0                                       // 0000000067E4: 7E580280
	v_mov_b32_e32 v45, 0                                       // 0000000067E8: 7E5A0280
	v_add_u32_e32 v1, s56, v1                                  // 0000000067EC: 68020238
	v_and_b32_e32 v7, 15, v0                                   // 0000000067F0: 260E008F
	v_lshlrev_b32_e32 v7, 2, v7                                // 0000000067F4: 240E0E82
	v_lshlrev_b32_e32 v8, 2, v0                                // 0000000067F8: 24100082
	s_mul_i32 s60, 0x100, s7                                   // 0000000067FC: 923C07FF 00000100
	v_add_u32_e32 v8, s60, v8                                  // 000000006804: 6810103C
	v_lshrrev_b32_e32 v64, 4, v0                               // 000000006808: 20800084
	v_lshlrev_b32_e32 v65, 6, v64                              // 00000000680C: 24828086
	v_and_b32_e32 v64, 15, v0                                  // 000000006810: 2680008F
	v_lshlrev_b32_e32 v64, 1, v64                              // 000000006814: 24808081
	v_add_u32_e32 v65, v64, v65                                // 000000006818: 68828340
	v_lshlrev_b32_e32 v9, 2, v65                               // 00000000681C: 24128282
	v_lshrrev_b32_e32 v64, 5, v0                               // 000000006820: 20800085
	v_lshlrev_b32_e32 v65, 5, v64                              // 000000006824: 24828085
	v_and_b32_e32 v64, 31, v0                                  // 000000006828: 2680009F
	v_lshrrev_b32_e32 v66, 4, v64                              // 00000000682C: 20848084
	v_add_u32_e32 v65, v66, v65                                // 000000006830: 68828342
	v_and_b32_e32 v64, 15, v0                                  // 000000006834: 2680008F
	v_lshlrev_b32_e32 v64, 1, v64                              // 000000006838: 24808081
	v_add_u32_e32 v65, v64, v65                                // 00000000683C: 68828340
	v_lshlrev_b32_e32 v64, 2, v65                              // 000000006840: 24808282
	s_mul_i32 s60, 0x100, s7                                   // 000000006844: 923C07FF 00000100
	v_add_u32_e64 v10, v64, s60                                // 00000000684C: D134000A 00007940
	v_lshlrev_b32_e32 v5, 4, v0                                // 000000006854: 240A0084
	s_mul_i32 s60, s2, s69                                     // 000000006858: 923C4502
	s_add_u32 s16, s60, s16                                    // 00000000685C: 8010103C
	s_addc_u32 s17, 0, s17                                     // 000000006860: 82111180
	v_and_b32_e32 v64, 15, v0                                  // 000000006864: 2680008F
	v_lshlrev_b32_e32 v6, 4, v64                               // 000000006868: 240C8084
	s_mul_i32 s61, s2, s69                                     // 00000000686C: 923D4502
	s_mul_i32 s60, s7, 0x100                                   // 000000006870: 923CFF07 00000100
	s_add_u32 s60, s60, s61                                    // 000000006878: 803C3D3C
	s_add_u32 s20, s60, s20                                    // 00000000687C: 8014143C
	s_addc_u32 s21, 0, s21                                     // 000000006880: 82151580
	s_waitcnt vmcnt(4)                                         // 000000006884: BF8C0F74
	v_mul_u32_u24_dpp v64, v16, v54 row_newbcast:0 row_mask:0xf bank_mask:0xf// 000000006888: 10806CFA FF015010
	v_mul_u32_u24_dpp v65, v16, v54 row_newbcast:4 row_mask:0xf bank_mask:0xf// 000000006890: 10826CFA FF015410
	v_mul_u32_u24_dpp v66, v16, v54 row_newbcast:8 row_mask:0xf bank_mask:0xf// 000000006898: 10846CFA FF015810
	v_mul_u32_u24_dpp v67, v16, v54 row_newbcast:12 row_mask:0xf bank_mask:0xf// 0000000068A0: 10866CFA FF015C10
	v_add_u32_e32 v22, v64, v5                                 // 0000000068A8: 682C0B40
	v_add_u32_e32 v23, v65, v5                                 // 0000000068AC: 682E0B41
	v_add_u32_e32 v24, v66, v5                                 // 0000000068B0: 68300B42
	v_add_u32_e32 v25, v67, v5                                 // 0000000068B4: 68320B43
	v_mul_u32_u24_dpp v64, v16, v54 row_newbcast:1 row_mask:0xf bank_mask:0xf// 0000000068B8: 10806CFA FF015110
	v_mul_u32_u24_dpp v65, v16, v54 row_newbcast:5 row_mask:0xf bank_mask:0xf// 0000000068C0: 10826CFA FF015510
	v_mul_u32_u24_dpp v66, v16, v54 row_newbcast:9 row_mask:0xf bank_mask:0xf// 0000000068C8: 10846CFA FF015910
	v_mul_u32_u24_dpp v67, v16, v54 row_newbcast:13 row_mask:0xf bank_mask:0xf// 0000000068D0: 10866CFA FF015D10
	v_add_u32_e32 v30, v64, v6                                 // 0000000068D8: 683C0D40
	v_add_u32_e32 v31, v65, v6                                 // 0000000068DC: 683E0D41
	v_add_u32_e32 v32, v66, v6                                 // 0000000068E0: 68400D42
	v_add_u32_e32 v33, v67, v6                                 // 0000000068E4: 68420D43
	v_mul_u32_u24_dpp v64, v16, v63 quad_perm:[0,0,0,0] row_mask:0xf bank_mask:0xf// 0000000068E8: 10807EFA FF000010
	v_add_u32_e32 v2, v64, v59                                 // 0000000068F0: 68047740
	v_mul_u32_u24_dpp v64, v16, v63 quad_perm:[0,0,0,0] row_mask:0xf bank_mask:0xf// 0000000068F4: 10807EFA FF000010
	v_add_u32_e32 v55, v64, v60                                // 0000000068FC: 686E7940
	buffer_load_dword v42, v2, s[32:35], 0 offen               // 000000006900: E0501000 80082A02
	buffer_load_dwordx4 a[0:3], v22, s[16:19], 0 offen         // 000000006908: E05C1000 80840016
	buffer_load_dwordx4 a[4:7], v22, s[16:19], 0 offen offset:1024// 000000006910: E05C1400 80840416
	buffer_load_dwordx4 a[8:11], v23, s[16:19], 0 offen        // 000000006918: E05C1000 80840817
	buffer_load_dwordx4 a[12:15], v23, s[16:19], 0 offen offset:1024// 000000006920: E05C1400 80840C17
	buffer_load_dwordx4 a[16:19], v24, s[16:19], 0 offen       // 000000006928: E05C1000 80841018
	buffer_load_dwordx4 a[20:23], v24, s[16:19], 0 offen offset:1024// 000000006930: E05C1400 80841418
	buffer_load_dwordx4 a[24:27], v25, s[16:19], 0 offen       // 000000006938: E05C1000 80841819
	buffer_load_dwordx4 a[28:31], v25, s[16:19], 0 offen offset:1024// 000000006940: E05C1400 80841C19
	buffer_load_dword v57, v55, s[36:39], 0 offen              // 000000006948: E0501000 80093937
	buffer_load_dwordx4 a[64:67], v30, s[20:23], 0 offen       // 000000006950: E05C1000 8085401E
	buffer_load_dwordx4 a[68:71], v31, s[20:23], 0 offen       // 000000006958: E05C1000 8085441F
	buffer_load_dwordx4 a[72:75], v32, s[20:23], 0 offen       // 000000006960: E05C1000 80854820
	buffer_load_dwordx4 a[76:79], v33, s[20:23], 0 offen       // 000000006968: E05C1000 80854C21
	buffer_load_dwordx4 a[80:83], v30, s[20:23], 0 offen offset:1024// 000000006970: E05C1400 8085501E
	buffer_load_dwordx4 a[84:87], v31, s[20:23], 0 offen offset:1024// 000000006978: E05C1400 8085541F
	buffer_load_dwordx4 a[88:91], v32, s[20:23], 0 offen offset:1024// 000000006980: E05C1400 80855820
	buffer_load_dwordx4 a[92:95], v33, s[20:23], 0 offen offset:1024// 000000006988: E05C1400 80855C21
	v_lshrrev_b32_e32 v64, 4, v0                               // 000000006990: 20800084
	v_lshlrev_b32_e32 v65, 1, v64                              // 000000006994: 24828081
	v_and_b32_e32 v64, 15, v0                                  // 000000006998: 2680008F
	v_mul_i32_i24_e32 v64, 0x42, v64                           // 00000000699C: 0C8080FF 00000042
	v_add_u32_e32 v65, v64, v65                                // 0000000069A4: 68828340
	v_lshlrev_b32_e32 v4, 2, v65                               // 0000000069A8: 24088282
	s_mul_i32 s60, s7, 32                                      // 0000000069AC: 923CA007
	v_add_u32_e32 v4, s60, v4                                  // 0000000069B0: 6808083C
	s_waitcnt vmcnt(16) lgkmcnt(0)                             // 0000000069B4: BF8C4070
	s_barrier                                                  // 0000000069B8: BF8A0000
	ds_read_b64 v[80:81], v4                                   // 0000000069BC: D8EC0000 50000004
	ds_read_b64 v[84:85], v4 offset:128                        // 0000000069C4: D8EC0080 54000004
	s_waitcnt lgkmcnt(0)                                       // 0000000069CC: BF8CC07F
	v_and_b32_e32 v64, 0xffff, v80                             // 0000000069D0: 2680A0FF 0000FFFF
	v_lshrrev_b32_e32 v65, 16, v80                             // 0000000069D8: 2082A090
	v_and_b32_e32 v66, 0xffff, v81                             // 0000000069DC: 2684A2FF 0000FFFF
	v_lshrrev_b32_e32 v67, 16, v81                             // 0000000069E4: 2086A290
	v_cvt_f32_f16_e32 v80, v64                                 // 0000000069E8: 7EA01740
	v_cvt_f32_f16_e32 v81, v65                                 // 0000000069EC: 7EA21741
	v_cvt_f32_f16_e32 v82, v66                                 // 0000000069F0: 7EA41742
	v_cvt_f32_f16_e32 v83, v67                                 // 0000000069F4: 7EA61743
	v_and_b32_e32 v64, 0xffff, v84                             // 0000000069F8: 2680A8FF 0000FFFF
	v_lshrrev_b32_e32 v65, 16, v84                             // 000000006A00: 2082A890
	v_and_b32_e32 v66, 0xffff, v85                             // 000000006A04: 2684AAFF 0000FFFF
	v_lshrrev_b32_e32 v67, 16, v85                             // 000000006A0C: 2086AA90
	v_cvt_f32_f16_e32 v84, v64                                 // 000000006A10: 7EA81740
	v_cvt_f32_f16_e32 v85, v65                                 // 000000006A14: 7EAA1741
	v_cvt_f32_f16_e32 v86, v66                                 // 000000006A18: 7EAC1742
	v_cvt_f32_f16_e32 v87, v67                                 // 000000006A1C: 7EAE1743
	v_mov_b32_e32 v48, 0x358637bd                              // 000000006A20: 7E6002FF 358637BD
	v_max3_f32 v48, |v80|, |v81|, v48                          // 000000006A28: D1D30330 04C2A350
	v_max3_f32 v48, |v82|, |v83|, v48                          // 000000006A30: D1D30330 04C2A752
	v_max3_f32 v48, |v84|, |v85|, v48                          // 000000006A38: D1D30330 04C2AB54
	v_max3_f32 v48, |v86|, |v87|, v48                          // 000000006A40: D1D30330 04C2AF56
	ds_write_b32 v8, v48 offset:16896                          // 000000006A48: D81A4200 00003008
	s_waitcnt lgkmcnt(0)                                       // 000000006A50: BF8CC07F
	s_barrier                                                  // 000000006A54: BF8A0000
	ds_read_b32 v64, v7 offset:16896                           // 000000006A58: D86C4200 40000007
	ds_read_b32 v65, v7 offset:16960                           // 000000006A60: D86C4240 41000007
	ds_read_b32 v66, v7 offset:17024                           // 000000006A68: D86C4280 42000007
	ds_read_b32 v67, v7 offset:17088                           // 000000006A70: D86C42C0 43000007
	ds_read_b32 v68, v7 offset:17152                           // 000000006A78: D86C4300 44000007
	ds_read_b32 v69, v7 offset:17216                           // 000000006A80: D86C4340 45000007
	ds_read_b32 v70, v7 offset:17280                           // 000000006A88: D86C4380 46000007
	ds_read_b32 v71, v7 offset:17344                           // 000000006A90: D86C43C0 47000007
	ds_read_b32 v72, v7 offset:17408                           // 000000006A98: D86C4400 48000007
	ds_read_b32 v73, v7 offset:17472                           // 000000006AA0: D86C4440 49000007
	ds_read_b32 v74, v7 offset:17536                           // 000000006AA8: D86C4480 4A000007
	ds_read_b32 v75, v7 offset:17600                           // 000000006AB0: D86C44C0 4B000007
	ds_read_b32 v76, v7 offset:17664                           // 000000006AB8: D86C4500 4C000007
	ds_read_b32 v77, v7 offset:17728                           // 000000006AC0: D86C4540 4D000007
	ds_read_b32 v78, v7 offset:17792                           // 000000006AC8: D86C4580 4E000007
	ds_read_b32 v79, v7 offset:17856                           // 000000006AD0: D86C45C0 4F000007
	s_waitcnt lgkmcnt(0)                                       // 000000006AD8: BF8CC07F
	v_max3_f32 v48, |v64|, |v65|, v48                          // 000000006ADC: D1D30330 04C28340
	v_max3_f32 v48, |v66|, |v67|, v48                          // 000000006AE4: D1D30330 04C28742
	v_max3_f32 v48, |v68|, |v69|, v48                          // 000000006AEC: D1D30330 04C28B44
	v_max3_f32 v48, |v70|, |v71|, v48                          // 000000006AF4: D1D30330 04C28F46
	v_max3_f32 v48, |v72|, |v73|, v48                          // 000000006AFC: D1D30330 04C29348
	v_max3_f32 v48, |v74|, |v75|, v48                          // 000000006B04: D1D30330 04C2974A
	v_max3_f32 v48, |v76|, |v77|, v48                          // 000000006B0C: D1D30330 04C29B4C
	v_max3_f32 v48, |v78|, |v79|, v48                          // 000000006B14: D1D30330 04C29F4E
	v_rcp_f32_e32 v48, v48                                     // 000000006B1C: 7E604530
	s_nop 1                                                    // 000000006B20: BF800001
	v_mul_f32_e32 v48, 0x43e00000, v48                         // 000000006B24: 0A6060FF 43E00000
	v_mul_f32_e32 v80, v48, v80                                // 000000006B2C: 0AA0A130
	v_mul_f32_e32 v81, v48, v81                                // 000000006B30: 0AA2A330
	v_mul_f32_e32 v82, v48, v82                                // 000000006B34: 0AA4A530
	v_mul_f32_e32 v83, v48, v83                                // 000000006B38: 0AA6A730
	v_mul_f32_e32 v84, v48, v84                                // 000000006B3C: 0AA8A930
	v_mul_f32_e32 v85, v48, v85                                // 000000006B40: 0AAAAB30
	v_mul_f32_e32 v86, v48, v86                                // 000000006B44: 0AACAD30
	v_mul_f32_e32 v87, v48, v87                                // 000000006B48: 0AAEAF30
	v_rcp_f32_e32 v18, v48                                     // 000000006B4C: 7E244530
	v_cvt_pk_fp8_f32 v80, v80, v81                             // 000000006B50: D2A20050 0002A350
	v_cvt_pk_fp8_f32 v80, v82, v83 op_sel:[0,0,1]              // 000000006B58: D2A24050 0002A752
	v_cvt_pk_fp8_f32 v81, v84, v85                             // 000000006B60: D2A20051 0002AB54
	v_cvt_pk_fp8_f32 v81, v86, v87 op_sel:[0,0,1]              // 000000006B68: D2A24051 0002AF56
	ds_write_b32 v10, v80 offset:25088                         // 000000006B70: D81A6200 0000500A
	ds_write_b32 v10, v81 offset:26112                         // 000000006B78: D81A6600 0000510A
	s_waitcnt lgkmcnt(0)                                       // 000000006B80: BF8CC07F
	s_barrier                                                  // 000000006B84: BF8A0000
	ds_read_b64 v[80:81], v9 offset:25088                      // 000000006B88: D8EC6200 50000009
	ds_read_b64 v[82:83], v9 offset:25216                      // 000000006B90: D8EC6280 52000009
	ds_read_b64 v[84:85], v9 offset:26112                      // 000000006B98: D8EC6600 54000009
	ds_read_b64 v[86:87], v9 offset:26240                      // 000000006BA0: D8EC6680 56000009
	v_mov_b32_e32 v208, 0                                      // 000000006BA8: 7FA00280
	v_mov_b32_e32 v209, 0                                      // 000000006BAC: 7FA20280
	v_mov_b32_e32 v210, 0                                      // 000000006BB0: 7FA40280
	v_mov_b32_e32 v211, 0                                      // 000000006BB4: 7FA60280
	v_mov_b32_e32 v212, 0                                      // 000000006BB8: 7FA80280
	v_mov_b32_e32 v213, 0                                      // 000000006BBC: 7FAA0280
	v_mov_b32_e32 v214, 0                                      // 000000006BC0: 7FAC0280
	v_mov_b32_e32 v215, 0                                      // 000000006BC4: 7FAE0280
	v_mov_b32_e32 v176, 0                                      // 000000006BC8: 7F600280
	v_mov_b32_e32 v177, 0                                      // 000000006BCC: 7F620280
	v_mov_b32_e32 v178, 0                                      // 000000006BD0: 7F640280
	v_mov_b32_e32 v179, 0                                      // 000000006BD4: 7F660280
	v_mov_b32_e32 v180, 0                                      // 000000006BD8: 7F680280
	v_mov_b32_e32 v181, 0                                      // 000000006BDC: 7F6A0280
	v_mov_b32_e32 v182, 0                                      // 000000006BE0: 7F6C0280
	v_mov_b32_e32 v183, 0                                      // 000000006BE4: 7F6E0280
	ds_read_b64 v[88:89], v4 offset:4224                       // 000000006BE8: D8EC1080 58000004
	ds_read_b64 v[92:93], v4 offset:4352                       // 000000006BF0: D8EC1100 5C000004
	s_waitcnt lgkmcnt(0)                                       // 000000006BF8: BF8CC07F
	v_and_b32_e32 v64, 0xffff, v88                             // 000000006BFC: 2680B0FF 0000FFFF
	v_lshrrev_b32_e32 v65, 16, v88                             // 000000006C04: 2082B090
	v_and_b32_e32 v66, 0xffff, v89                             // 000000006C08: 2684B2FF 0000FFFF
	v_lshrrev_b32_e32 v67, 16, v89                             // 000000006C10: 2086B290
	v_cvt_f32_f16_e32 v88, v64                                 // 000000006C14: 7EB01740
	v_cvt_f32_f16_e32 v89, v65                                 // 000000006C18: 7EB21741
	v_cvt_f32_f16_e32 v90, v66                                 // 000000006C1C: 7EB41742
	v_cvt_f32_f16_e32 v91, v67                                 // 000000006C20: 7EB61743
	v_and_b32_e32 v64, 0xffff, v92                             // 000000006C24: 2680B8FF 0000FFFF
	v_lshrrev_b32_e32 v65, 16, v92                             // 000000006C2C: 2082B890
	v_and_b32_e32 v66, 0xffff, v93                             // 000000006C30: 2684BAFF 0000FFFF
	v_lshrrev_b32_e32 v67, 16, v93                             // 000000006C38: 2086BA90
	v_cvt_f32_f16_e32 v92, v64                                 // 000000006C3C: 7EB81740
	v_cvt_f32_f16_e32 v93, v65                                 // 000000006C40: 7EBA1741
	v_cvt_f32_f16_e32 v94, v66                                 // 000000006C44: 7EBC1742
	v_cvt_f32_f16_e32 v95, v67                                 // 000000006C48: 7EBE1743
	v_mov_b32_e32 v48, 0x358637bd                              // 000000006C4C: 7E6002FF 358637BD
	v_max3_f32 v48, |v88|, |v89|, v48                          // 000000006C54: D1D30330 04C2B358
	v_max3_f32 v48, |v90|, |v91|, v48                          // 000000006C5C: D1D30330 04C2B75A
	v_max3_f32 v48, |v92|, |v93|, v48                          // 000000006C64: D1D30330 04C2BB5C
	v_max3_f32 v48, |v94|, |v95|, v48                          // 000000006C6C: D1D30330 04C2BF5E
	ds_write_b32 v8, v48 offset:16896                          // 000000006C74: D81A4200 00003008
	s_waitcnt lgkmcnt(0)                                       // 000000006C7C: BF8CC07F
	s_barrier                                                  // 000000006C80: BF8A0000
	ds_read_b32 v64, v7 offset:16896                           // 000000006C84: D86C4200 40000007
	ds_read_b32 v65, v7 offset:16960                           // 000000006C8C: D86C4240 41000007
	ds_read_b32 v66, v7 offset:17024                           // 000000006C94: D86C4280 42000007
	ds_read_b32 v67, v7 offset:17088                           // 000000006C9C: D86C42C0 43000007
	ds_read_b32 v68, v7 offset:17152                           // 000000006CA4: D86C4300 44000007
	ds_read_b32 v69, v7 offset:17216                           // 000000006CAC: D86C4340 45000007
	ds_read_b32 v70, v7 offset:17280                           // 000000006CB4: D86C4380 46000007
	ds_read_b32 v71, v7 offset:17344                           // 000000006CBC: D86C43C0 47000007
	ds_read_b32 v72, v7 offset:17408                           // 000000006CC4: D86C4400 48000007
	ds_read_b32 v73, v7 offset:17472                           // 000000006CCC: D86C4440 49000007
	ds_read_b32 v74, v7 offset:17536                           // 000000006CD4: D86C4480 4A000007
	ds_read_b32 v75, v7 offset:17600                           // 000000006CDC: D86C44C0 4B000007
	ds_read_b32 v76, v7 offset:17664                           // 000000006CE4: D86C4500 4C000007
	ds_read_b32 v77, v7 offset:17728                           // 000000006CEC: D86C4540 4D000007
	ds_read_b32 v78, v7 offset:17792                           // 000000006CF4: D86C4580 4E000007
	ds_read_b32 v79, v7 offset:17856                           // 000000006CFC: D86C45C0 4F000007
	s_waitcnt lgkmcnt(0)                                       // 000000006D04: BF8CC07F
	v_max3_f32 v48, |v64|, |v65|, v48                          // 000000006D08: D1D30330 04C28340
	v_max3_f32 v48, |v66|, |v67|, v48                          // 000000006D10: D1D30330 04C28742
	v_max3_f32 v48, |v68|, |v69|, v48                          // 000000006D18: D1D30330 04C28B44
	v_max3_f32 v48, |v70|, |v71|, v48                          // 000000006D20: D1D30330 04C28F46
	v_max3_f32 v48, |v72|, |v73|, v48                          // 000000006D28: D1D30330 04C29348
	v_max3_f32 v48, |v74|, |v75|, v48                          // 000000006D30: D1D30330 04C2974A
	v_max3_f32 v48, |v76|, |v77|, v48                          // 000000006D38: D1D30330 04C29B4C
	v_max3_f32 v48, |v78|, |v79|, v48                          // 000000006D40: D1D30330 04C29F4E
	v_rcp_f32_e32 v48, v48                                     // 000000006D48: 7E604530
	s_nop 1                                                    // 000000006D4C: BF800001
	v_mul_f32_e32 v48, 0x43e00000, v48                         // 000000006D50: 0A6060FF 43E00000
	v_mul_f32_e32 v88, v48, v88                                // 000000006D58: 0AB0B130
	v_mul_f32_e32 v89, v48, v89                                // 000000006D5C: 0AB2B330
	v_mul_f32_e32 v90, v48, v90                                // 000000006D60: 0AB4B530
	v_mul_f32_e32 v91, v48, v91                                // 000000006D64: 0AB6B730
	v_mul_f32_e32 v92, v48, v92                                // 000000006D68: 0AB8B930
	v_mul_f32_e32 v93, v48, v93                                // 000000006D6C: 0ABABB30
	v_mul_f32_e32 v94, v48, v94                                // 000000006D70: 0ABCBD30
	v_mul_f32_e32 v95, v48, v95                                // 000000006D74: 0ABEBF30
	v_rcp_f32_e32 v19, v48                                     // 000000006D78: 7E264530
	v_cvt_pk_fp8_f32 v88, v88, v89                             // 000000006D7C: D2A20058 0002B358
	v_cvt_pk_fp8_f32 v88, v90, v91 op_sel:[0,0,1]              // 000000006D84: D2A24058 0002B75A
	v_cvt_pk_fp8_f32 v89, v92, v93                             // 000000006D8C: D2A20059 0002BB5C
	v_cvt_pk_fp8_f32 v89, v94, v95 op_sel:[0,0,1]              // 000000006D94: D2A24059 0002BF5E
	ds_write_b32 v10, v88 offset:25088                         // 000000006D9C: D81A6200 0000580A
	ds_write_b32 v10, v89 offset:26112                         // 000000006DA4: D81A6600 0000590A
	s_waitcnt lgkmcnt(0)                                       // 000000006DAC: BF8CC07F
	s_barrier                                                  // 000000006DB0: BF8A0000
	ds_read_b64 v[88:89], v9 offset:25088                      // 000000006DB4: D8EC6200 58000009
	ds_read_b64 v[90:91], v9 offset:25216                      // 000000006DBC: D8EC6280 5A000009
	ds_read_b64 v[92:93], v9 offset:26112                      // 000000006DC4: D8EC6600 5C000009
	ds_read_b64 v[94:95], v9 offset:26240                      // 000000006DCC: D8EC6680 5E000009
	v_mov_b32_e32 v216, 0                                      // 000000006DD4: 7FB00280
	v_mov_b32_e32 v217, 0                                      // 000000006DD8: 7FB20280
	v_mov_b32_e32 v218, 0                                      // 000000006DDC: 7FB40280
	v_mov_b32_e32 v219, 0                                      // 000000006DE0: 7FB60280
	v_mov_b32_e32 v220, 0                                      // 000000006DE4: 7FB80280
	v_mov_b32_e32 v221, 0                                      // 000000006DE8: 7FBA0280
	v_mov_b32_e32 v222, 0                                      // 000000006DEC: 7FBC0280
	v_mov_b32_e32 v223, 0                                      // 000000006DF0: 7FBE0280
	v_mov_b32_e32 v184, 0                                      // 000000006DF4: 7F700280
	v_mov_b32_e32 v185, 0                                      // 000000006DF8: 7F720280
	v_mov_b32_e32 v186, 0                                      // 000000006DFC: 7F740280
	v_mov_b32_e32 v187, 0                                      // 000000006E00: 7F760280
	v_mov_b32_e32 v188, 0                                      // 000000006E04: 7F780280
	v_mov_b32_e32 v189, 0                                      // 000000006E08: 7F7A0280
	v_mov_b32_e32 v190, 0                                      // 000000006E0C: 7F7C0280
	v_mov_b32_e32 v191, 0                                      // 000000006E10: 7F7E0280
	s_waitcnt vmcnt(8) lgkmcnt(0)                              // 000000006E14: BF8C0078
	s_barrier                                                  // 000000006E18: BF8A0000
	s_cmp_lt_u32 s73, 16                                       // 000000006E1C: BF0A9049
	s_cbranch_scc1 label_2408                                  // 000000006E20: BF8510FF
	s_cmp_lt_i32 s7, 2                                         // 000000006E24: BF048207
	s_cbranch_scc0 label_1B8B                                  // 000000006E28: BF840880

0000000000006e2c <label_130B>:
	s_waitcnt vmcnt(8) lgkmcnt(0)                              // 000000006E2C: BF8C0078
	v_mul_u32_u24_dpp v64, v17, v54 row_newbcast:0 row_mask:0xf bank_mask:0xf// 000000006E30: 10806CFA FF015011
	v_mul_u32_u24_dpp v65, v17, v54 row_newbcast:4 row_mask:0xf bank_mask:0xf// 000000006E38: 10826CFA FF015411
	v_mul_u32_u24_dpp v66, v17, v54 row_newbcast:8 row_mask:0xf bank_mask:0xf// 000000006E40: 10846CFA FF015811
	v_mul_u32_u24_dpp v67, v17, v54 row_newbcast:12 row_mask:0xf bank_mask:0xf// 000000006E48: 10866CFA FF015C11
	v_add_u32_e32 v26, v64, v5                                 // 000000006E50: 68340B40
	v_add_u32_e32 v27, v65, v5                                 // 000000006E54: 68360B41
	v_add_u32_e32 v28, v66, v5                                 // 000000006E58: 68380B42
	v_add_u32_e32 v29, v67, v5                                 // 000000006E5C: 683A0B43
	v_mul_u32_u24_dpp v64, v17, v63 quad_perm:[0,0,0,0] row_mask:0xf bank_mask:0xf// 000000006E60: 10807EFA FF000011
	v_add_u32_e32 v3, v64, v59                                 // 000000006E68: 68067740
	v_mul_u32_u24_dpp v64, v17, v63 quad_perm:[0,0,0,0] row_mask:0xf bank_mask:0xf// 000000006E6C: 10807EFA FF000011
	v_add_u32_e32 v56, v64, v60                                // 000000006E74: 68707940
	v_mfma_f32_16x16x32_fp8_fp8 v[112:115], a[0:1], v[80:81], 0// 000000006E78: D3F30070 0A02A100
	v_mfma_f32_16x16x32_fp8_fp8 v[112:115], a[2:3], v[82:83], v[112:115]// 000000006E80: D3F30070 0DC2A502
	buffer_load_dwordx4 a[32:35], v26, s[16:19], 0 offen       // 000000006E88: E05C1000 8084201A
	v_mfma_f32_16x16x32_fp8_fp8 v[112:115], a[4:5], v[84:85], v[112:115]// 000000006E90: D3F30070 0DC2A904
	v_mfma_f32_16x16x32_fp8_fp8 v[112:115], a[6:7], v[86:87], v[112:115]// 000000006E98: D3F30070 0DC2AD06
	buffer_load_dword v16, v1, s[24:27], 0 offen               // 000000006EA0: E0501000 80061001
	v_mfma_f32_16x16x32_fp8_fp8 v[116:119], a[8:9], v[80:81], 0// 000000006EA8: D3F30074 0A02A108
	v_mfma_f32_16x16x32_fp8_fp8 v[116:119], a[10:11], v[82:83], v[116:119]// 000000006EB0: D3F30074 0DD2A50A
	buffer_load_dwordx4 a[36:39], v26, s[16:19], 0 offen offset:1024// 000000006EB8: E05C1400 8084241A
	v_mfma_f32_16x16x32_fp8_fp8 v[116:119], a[12:13], v[84:85], v[116:119]// 000000006EC0: D3F30074 0DD2A90C
	v_mfma_f32_16x16x32_fp8_fp8 v[116:119], a[14:15], v[86:87], v[116:119]// 000000006EC8: D3F30074 0DD2AD0E
	v_mfma_f32_16x16x32_fp8_fp8 v[120:123], a[16:17], v[80:81], 0// 000000006ED0: D3F30078 0A02A110
	v_mfma_f32_16x16x32_fp8_fp8 v[120:123], a[18:19], v[82:83], v[120:123]// 000000006ED8: D3F30078 0DE2A512
	buffer_load_dwordx4 a[40:43], v27, s[16:19], 0 offen       // 000000006EE0: E05C1000 8084281B
	v_mfma_f32_16x16x32_fp8_fp8 v[120:123], a[20:21], v[84:85], v[120:123]// 000000006EE8: D3F30078 0DE2A914
	v_mfma_f32_16x16x32_fp8_fp8 v[120:123], a[22:23], v[86:87], v[120:123]// 000000006EF0: D3F30078 0DE2AD16
	v_mfma_f32_16x16x32_fp8_fp8 v[124:127], a[24:25], v[80:81], 0// 000000006EF8: D3F3007C 0A02A118
	v_mfma_f32_16x16x32_fp8_fp8 v[124:127], a[26:27], v[82:83], v[124:127]// 000000006F00: D3F3007C 0DF2A51A
	buffer_load_dwordx4 a[44:47], v27, s[16:19], 0 offen offset:1024// 000000006F08: E05C1400 80842C1B
	v_mfma_f32_16x16x32_fp8_fp8 v[124:127], a[28:29], v[84:85], v[124:127]// 000000006F10: D3F3007C 0DF2A91C
	v_mfma_f32_16x16x32_fp8_fp8 v[124:127], a[30:31], v[86:87], v[124:127]// 000000006F18: D3F3007C 0DF2AD1E
	v_mfma_f32_16x16x32_fp8_fp8 v[128:131], a[0:1], v[88:89], 0// 000000006F20: D3F30080 0A02B100
	v_mfma_f32_16x16x32_fp8_fp8 v[128:131], a[2:3], v[90:91], v[128:131]// 000000006F28: D3F30080 0E02B502
	v_mfma_f32_16x16x32_fp8_fp8 v[128:131], a[4:5], v[92:93], v[128:131]// 000000006F30: D3F30080 0E02B904
	v_mfma_f32_16x16x32_fp8_fp8 v[128:131], a[6:7], v[94:95], v[128:131]// 000000006F38: D3F30080 0E02BD06
	v_mfma_f32_16x16x32_fp8_fp8 v[132:135], a[8:9], v[88:89], 0// 000000006F40: D3F30084 0A02B108
	v_mfma_f32_16x16x32_fp8_fp8 v[132:135], a[10:11], v[90:91], v[132:135]// 000000006F48: D3F30084 0E12B50A
	v_mfma_f32_16x16x32_fp8_fp8 v[132:135], a[12:13], v[92:93], v[132:135]// 000000006F50: D3F30084 0E12B90C
	v_mfma_f32_16x16x32_fp8_fp8 v[132:135], a[14:15], v[94:95], v[132:135]// 000000006F58: D3F30084 0E12BD0E
	v_mfma_f32_16x16x32_fp8_fp8 v[136:139], a[16:17], v[88:89], 0// 000000006F60: D3F30088 0A02B110
	v_mfma_f32_16x16x32_fp8_fp8 v[136:139], a[18:19], v[90:91], v[136:139]// 000000006F68: D3F30088 0E22B512
	v_mfma_f32_16x16x32_fp8_fp8 v[136:139], a[20:21], v[92:93], v[136:139]// 000000006F70: D3F30088 0E22B914
	v_mfma_f32_16x16x32_fp8_fp8 v[136:139], a[22:23], v[94:95], v[136:139]// 000000006F78: D3F30088 0E22BD16
	v_mfma_f32_16x16x32_fp8_fp8 v[140:143], a[24:25], v[88:89], 0// 000000006F80: D3F3008C 0A02B118
	v_mfma_f32_16x16x32_fp8_fp8 v[140:143], a[26:27], v[90:91], v[140:143]// 000000006F88: D3F3008C 0E32B51A
	v_mfma_f32_16x16x32_fp8_fp8 v[140:143], a[28:29], v[92:93], v[140:143]// 000000006F90: D3F3008C 0E32B91C
	v_mfma_f32_16x16x32_fp8_fp8 v[140:143], a[30:31], v[94:95], v[140:143]// 000000006F98: D3F3008C 0E32BD1E
	buffer_load_dword v43, v3, s[32:35], 0 offen               // 000000006FA0: E0501000 80082B03
	v_mov_b32_dpp v64, v42 row_shr:4 row_mask:0xf bank_mask:0xf// 000000006FA8: 7E8002FA FF01142A
	v_mov_b32_dpp v65, v42 row_shl:4 row_mask:0xf bank_mask:0xf// 000000006FB0: 7E8202FA FF01042A
	v_cndmask_b32_e64 v248, v42, v64, s[44:45]                 // 000000006FB8: D10000F8 00B2812A
	v_cndmask_b32_e64 v249, v65, v42, s[44:45]                 // 000000006FC0: D10000F9 00B25541
	v_mov_b32_dpp v64, v248 row_shr:8 row_mask:0xf bank_mask:0xf// 000000006FC8: 7E8002FA FF0118F8
	v_mov_b32_dpp v65, v248 row_shl:8 row_mask:0xf bank_mask:0xf// 000000006FD0: 7E8202FA FF0108F8
	v_mov_b32_dpp v66, v249 row_shr:8 row_mask:0xf bank_mask:0xf// 000000006FD8: 7E8402FA FF0118F9
	v_mov_b32_dpp v67, v249 row_shl:8 row_mask:0xf bank_mask:0xf// 000000006FE0: 7E8602FA FF0108F9
	v_mov_b32_e32 v68, v248                                    // 000000006FE8: 7E8803F8
	v_mov_b32_e32 v69, v249                                    // 000000006FEC: 7E8A03F9
	v_cndmask_b32_e64 v248, v68, v64, s[42:43]                 // 000000006FF0: D10000F8 00AA8144
	v_cndmask_b32_e64 v250, v68, v65, s[78:79]                 // 000000006FF8: D10000FA 013A8344
	v_cndmask_b32_e64 v249, v69, v66, s[42:43]                 // 000000007000: D10000F9 00AA8545
	v_cndmask_b32_e64 v251, v69, v67, s[78:79]                 // 000000007008: D10000FB 013A8745
	v_mov_b32_dpp v64, v57 row_shr:4 row_mask:0xf bank_mask:0xf// 000000007010: 7E8002FA FF011439
	v_mov_b32_dpp v65, v57 row_shl:4 row_mask:0xf bank_mask:0xf// 000000007018: 7E8202FA FF010439
	v_cndmask_b32_e64 v252, v57, v64, s[44:45]                 // 000000007020: D10000FC 00B28139
	v_cndmask_b32_e64 v253, v65, v57, s[44:45]                 // 000000007028: D10000FD 00B27341
	v_mov_b32_dpp v64, v252 row_shr:8 row_mask:0xf bank_mask:0xf// 000000007030: 7E8002FA FF0118FC
	v_mov_b32_dpp v65, v252 row_shl:8 row_mask:0xf bank_mask:0xf// 000000007038: 7E8202FA FF0108FC
	v_mov_b32_dpp v66, v253 row_shr:8 row_mask:0xf bank_mask:0xf// 000000007040: 7E8402FA FF0118FD
	v_mov_b32_dpp v67, v253 row_shl:8 row_mask:0xf bank_mask:0xf// 000000007048: 7E8602FA FF0108FD
	v_mov_b32_e32 v68, v252                                    // 000000007050: 7E8803FC
	v_mov_b32_e32 v69, v253                                    // 000000007054: 7E8A03FD
	v_cndmask_b32_e64 v252, v68, v64, s[42:43]                 // 000000007058: D10000FC 00AA8144
	v_cndmask_b32_e64 v254, v68, v65, s[78:79]                 // 000000007060: D10000FE 013A8344
	v_cndmask_b32_e64 v253, v69, v66, s[42:43]                 // 000000007068: D10000FD 00AA8545
	v_cndmask_b32_e64 v255, v69, v67, s[78:79]                 // 000000007070: D10000FF 013A8745
	buffer_load_dword v58, v56, s[36:39], 0 offen              // 000000007078: E0501000 80093A38
	v_mul_f32_e32 v112, v18, v112                              // 000000007080: 0AE0E112
	v_mul_f32_e32 v113, v18, v113                              // 000000007084: 0AE2E312
	v_mul_f32_e32 v114, v18, v114                              // 000000007088: 0AE4E512
	v_mul_f32_e32 v115, v18, v115                              // 00000000708C: 0AE6E712
	v_mul_f32_e32 v116, v18, v116                              // 000000007090: 0AE8E912
	v_mul_f32_e32 v117, v18, v117                              // 000000007094: 0AEAEB12
	v_mul_f32_e32 v118, v18, v118                              // 000000007098: 0AECED12
	v_mul_f32_e32 v119, v18, v119                              // 00000000709C: 0AEEEF12
	v_mul_f32_e32 v120, v18, v120                              // 0000000070A0: 0AF0F112
	v_mul_f32_e32 v121, v18, v121                              // 0000000070A4: 0AF2F312
	v_mul_f32_e32 v122, v18, v122                              // 0000000070A8: 0AF4F512
	v_mul_f32_e32 v123, v18, v123                              // 0000000070AC: 0AF6F712
	v_mul_f32_e32 v124, v18, v124                              // 0000000070B0: 0AF8F912
	v_mul_f32_e32 v125, v18, v125                              // 0000000070B4: 0AFAFB12
	v_mul_f32_e32 v126, v18, v126                              // 0000000070B8: 0AFCFD12
	v_mul_f32_e32 v127, v18, v127                              // 0000000070BC: 0AFEFF12
	buffer_load_dwordx4 a[48:51], v28, s[16:19], 0 offen       // 0000000070C0: E05C1000 8084301C
	v_mul_f32_dpp v112, v248, v112 quad_perm:[0,0,0,0] row_mask:0xf bank_mask:0xf// 0000000070C8: 0AE0E0FA FF0000F8
	v_mul_f32_dpp v113, v248, v113 quad_perm:[1,1,1,1] row_mask:0xf bank_mask:0xf// 0000000070D0: 0AE2E2FA FF0055F8
	v_mul_f32_dpp v114, v248, v114 quad_perm:[2,2,2,2] row_mask:0xf bank_mask:0xf// 0000000070D8: 0AE4E4FA FF00AAF8
	v_mul_f32_dpp v115, v248, v115 quad_perm:[3,3,3,3] row_mask:0xf bank_mask:0xf// 0000000070E0: 0AE6E6FA FF00FFF8
	v_mul_f32_dpp v116, v249, v116 quad_perm:[0,0,0,0] row_mask:0xf bank_mask:0xf// 0000000070E8: 0AE8E8FA FF0000F9
	v_mul_f32_dpp v117, v249, v117 quad_perm:[1,1,1,1] row_mask:0xf bank_mask:0xf// 0000000070F0: 0AEAEAFA FF0055F9
	v_mul_f32_dpp v118, v249, v118 quad_perm:[2,2,2,2] row_mask:0xf bank_mask:0xf// 0000000070F8: 0AECECFA FF00AAF9
	v_mul_f32_dpp v119, v249, v119 quad_perm:[3,3,3,3] row_mask:0xf bank_mask:0xf// 000000007100: 0AEEEEFA FF00FFF9
	v_mul_f32_dpp v120, v250, v120 quad_perm:[0,0,0,0] row_mask:0xf bank_mask:0xf// 000000007108: 0AF0F0FA FF0000FA
	v_mul_f32_dpp v121, v250, v121 quad_perm:[1,1,1,1] row_mask:0xf bank_mask:0xf// 000000007110: 0AF2F2FA FF0055FA
	v_mul_f32_dpp v122, v250, v122 quad_perm:[2,2,2,2] row_mask:0xf bank_mask:0xf// 000000007118: 0AF4F4FA FF00AAFA
	v_mul_f32_dpp v123, v250, v123 quad_perm:[3,3,3,3] row_mask:0xf bank_mask:0xf// 000000007120: 0AF6F6FA FF00FFFA
	v_mul_f32_dpp v124, v251, v124 quad_perm:[0,0,0,0] row_mask:0xf bank_mask:0xf// 000000007128: 0AF8F8FA FF0000FB
	v_mul_f32_dpp v125, v251, v125 quad_perm:[1,1,1,1] row_mask:0xf bank_mask:0xf// 000000007130: 0AFAFAFA FF0055FB
	v_mul_f32_dpp v126, v251, v126 quad_perm:[2,2,2,2] row_mask:0xf bank_mask:0xf// 000000007138: 0AFCFCFA FF00AAFB
	v_mul_f32_dpp v127, v251, v127 quad_perm:[3,3,3,3] row_mask:0xf bank_mask:0xf// 000000007140: 0AFEFEFA FF00FFFB
	buffer_load_dwordx4 a[52:55], v28, s[16:19], 0 offen offset:1024// 000000007148: E05C1400 8084341C
	v_mov_b32_e32 v48, v112                                    // 000000007150: 7E600370
	v_max3_f32 v48, v112, v113, v48                            // 000000007154: D1D30030 04C2E370
	v_max3_f32 v48, v114, v115, v48                            // 00000000715C: D1D30030 04C2E772
	v_max3_f32 v48, v116, v117, v48                            // 000000007164: D1D30030 04C2EB74
	v_max3_f32 v48, v118, v119, v48                            // 00000000716C: D1D30030 04C2EF76
	v_max3_f32 v48, v120, v121, v48                            // 000000007174: D1D30030 04C2F378
	v_max3_f32 v48, v122, v123, v48                            // 00000000717C: D1D30030 04C2F77A
	v_max3_f32 v48, v124, v125, v48                            // 000000007184: D1D30030 04C2FB7C
	v_max3_f32 v48, v126, v127, v48                            // 00000000718C: D1D30030 04C2FF7E
	ds_write_b32 v8, v48 offset:16896                          // 000000007194: D81A4200 00003008
	buffer_load_dwordx4 a[56:59], v29, s[16:19], 0 offen       // 00000000719C: E05C1000 8084381D
	v_mul_u32_u24_dpp v64, v17, v54 row_newbcast:1 row_mask:0xf bank_mask:0xf// 0000000071A4: 10806CFA FF015111
	v_mul_u32_u24_dpp v65, v17, v54 row_newbcast:5 row_mask:0xf bank_mask:0xf// 0000000071AC: 10826CFA FF015511
	v_mul_u32_u24_dpp v66, v17, v54 row_newbcast:9 row_mask:0xf bank_mask:0xf// 0000000071B4: 10846CFA FF015911
	v_mul_u32_u24_dpp v67, v17, v54 row_newbcast:13 row_mask:0xf bank_mask:0xf// 0000000071BC: 10866CFA FF015D11
	v_add_u32_e32 v34, v64, v6                                 // 0000000071C4: 68440D40
	v_add_u32_e32 v35, v65, v6                                 // 0000000071C8: 68460D41
	v_add_u32_e32 v36, v66, v6                                 // 0000000071CC: 68480D42
	v_add_u32_e32 v37, v67, v6                                 // 0000000071D0: 684A0D43
	v_mul_f32_e32 v208, v49, v208                              // 0000000071D4: 0BA1A131
	v_mul_f32_e32 v209, v49, v209                              // 0000000071D8: 0BA3A331
	v_mul_f32_e32 v210, v49, v210                              // 0000000071DC: 0BA5A531
	v_mul_f32_e32 v211, v49, v211                              // 0000000071E0: 0BA7A731
	v_mul_f32_e32 v212, v49, v212                              // 0000000071E4: 0BA9A931
	v_mul_f32_e32 v213, v49, v213                              // 0000000071E8: 0BABAB31
	v_mul_f32_e32 v214, v49, v214                              // 0000000071EC: 0BADAD31
	v_mul_f32_e32 v215, v49, v215                              // 0000000071F0: 0BAFAF31
	s_waitcnt lgkmcnt(0)                                       // 0000000071F4: BF8CC07F
	s_barrier                                                  // 0000000071F8: BF8A0000
	ds_read_b32 v64, v7 offset:16896                           // 0000000071FC: D86C4200 40000007
	ds_read_b32 v65, v7 offset:16960                           // 000000007204: D86C4240 41000007
	ds_read_b32 v66, v7 offset:17024                           // 00000000720C: D86C4280 42000007
	ds_read_b32 v67, v7 offset:17088                           // 000000007214: D86C42C0 43000007
	ds_read_b32 v68, v7 offset:17152                           // 00000000721C: D86C4300 44000007
	ds_read_b32 v69, v7 offset:17216                           // 000000007224: D86C4340 45000007
	ds_read_b32 v70, v7 offset:17280                           // 00000000722C: D86C4380 46000007
	ds_read_b32 v71, v7 offset:17344                           // 000000007234: D86C43C0 47000007
	ds_read_b32 v72, v7 offset:17408                           // 00000000723C: D86C4400 48000007
	ds_read_b32 v73, v7 offset:17472                           // 000000007244: D86C4440 49000007
	ds_read_b32 v74, v7 offset:17536                           // 00000000724C: D86C4480 4A000007
	ds_read_b32 v75, v7 offset:17600                           // 000000007254: D86C44C0 4B000007
	ds_read_b32 v76, v7 offset:17664                           // 00000000725C: D86C4500 4C000007
	ds_read_b32 v77, v7 offset:17728                           // 000000007264: D86C4540 4D000007
	ds_read_b32 v78, v7 offset:17792                           // 00000000726C: D86C4580 4E000007
	ds_read_b32 v79, v7 offset:17856                           // 000000007274: D86C45C0 4F000007
	buffer_load_dwordx4 a[60:63], v29, s[16:19], 0 offen offset:1024// 00000000727C: E05C1400 80843C1D
	v_mul_f32_e32 v176, v44, v176                              // 000000007284: 0B61612C
	v_mul_f32_e32 v177, v44, v177                              // 000000007288: 0B63632C
	v_mul_f32_e32 v178, v44, v178                              // 00000000728C: 0B65652C
	v_mul_f32_e32 v179, v44, v179                              // 000000007290: 0B67672C
	v_mul_f32_e32 v180, v44, v180                              // 000000007294: 0B69692C
	v_mul_f32_e32 v181, v44, v181                              // 000000007298: 0B6B6B2C
	v_mul_f32_e32 v182, v44, v182                              // 00000000729C: 0B6D6D2C
	v_mul_f32_e32 v183, v44, v183                              // 0000000072A0: 0B6F6F2C
	s_waitcnt lgkmcnt(0)                                       // 0000000072A4: BF8CC07F
	v_max3_f32 v48, v64, v65, v48                              // 0000000072A8: D1D30030 04C28340
	v_max3_f32 v48, v66, v67, v48                              // 0000000072B0: D1D30030 04C28742
	v_max3_f32 v48, v68, v69, v48                              // 0000000072B8: D1D30030 04C28B44
	v_max3_f32 v48, v70, v71, v48                              // 0000000072C0: D1D30030 04C28F46
	v_max3_f32 v48, v72, v73, v48                              // 0000000072C8: D1D30030 04C29348
	v_max3_f32 v48, v74, v75, v48                              // 0000000072D0: D1D30030 04C2974A
	v_max3_f32 v48, v76, v77, v48                              // 0000000072D8: D1D30030 04C29B4C
	v_max3_f32 v48, v78, v79, v48                              // 0000000072E0: D1D30030 04C29F4E
	buffer_load_dwordx4 a[96:99], v34, s[20:23], 0 offen       // 0000000072E8: E05C1000 80856022
	v_mov_b32_e32 v64, 0xff800000                              // 0000000072F0: 7E8002FF FF800000
	v_cmp_eq_u32_e64 s[40:41], v64, v11                        // 0000000072F8: D0CA0028 00021740
	s_nop 1                                                    // 000000007300: BF800001
	v_max_f32_e32 v15, v48, v11                                // 000000007304: 161E1730
	v_mul_f32_e32 v53, s64, v15                                // 000000007308: 0A6A1E40
	v_fma_f32 v112, v112, s64, -v53                            // 00000000730C: D1CB0070 84D48170
	v_fma_f32 v113, v113, s64, -v53                            // 000000007314: D1CB0071 84D48171
	v_fma_f32 v114, v114, s64, -v53                            // 00000000731C: D1CB0072 84D48172
	v_fma_f32 v115, v115, s64, -v53                            // 000000007324: D1CB0073 84D48173
	v_fma_f32 v116, v116, s64, -v53                            // 00000000732C: D1CB0074 84D48174
	v_fma_f32 v117, v117, s64, -v53                            // 000000007334: D1CB0075 84D48175
	v_fma_f32 v118, v118, s64, -v53                            // 00000000733C: D1CB0076 84D48176
	v_fma_f32 v119, v119, s64, -v53                            // 000000007344: D1CB0077 84D48177
	v_fma_f32 v120, v120, s64, -v53                            // 00000000734C: D1CB0078 84D48178
	v_fma_f32 v121, v121, s64, -v53                            // 000000007354: D1CB0079 84D48179
	v_fma_f32 v122, v122, s64, -v53                            // 00000000735C: D1CB007A 84D4817A
	v_fma_f32 v123, v123, s64, -v53                            // 000000007364: D1CB007B 84D4817B
	v_fma_f32 v124, v124, s64, -v53                            // 00000000736C: D1CB007C 84D4817C
	v_fma_f32 v125, v125, s64, -v53                            // 000000007374: D1CB007D 84D4817D
	v_fma_f32 v126, v126, s64, -v53                            // 00000000737C: D1CB007E 84D4817E
	v_fma_f32 v127, v127, s64, -v53                            // 000000007384: D1CB007F 84D4817F
	buffer_load_dwordx4 a[100:103], v35, s[20:23], 0 offen     // 00000000738C: E05C1000 80856423
	v_exp_f32_e32 v112, v112                                   // 000000007394: 7EE04170
	v_exp_f32_e32 v113, v113                                   // 000000007398: 7EE24171
	v_exp_f32_e32 v114, v114                                   // 00000000739C: 7EE44172
	v_exp_f32_e32 v115, v115                                   // 0000000073A0: 7EE64173
	v_exp_f32_e32 v116, v116                                   // 0000000073A4: 7EE84174
	v_exp_f32_e32 v117, v117                                   // 0000000073A8: 7EEA4175
	v_exp_f32_e32 v118, v118                                   // 0000000073AC: 7EEC4176
	v_exp_f32_e32 v119, v119                                   // 0000000073B0: 7EEE4177
	v_exp_f32_e32 v120, v120                                   // 0000000073B4: 7EF04178
	v_exp_f32_e32 v121, v121                                   // 0000000073B8: 7EF24179
	v_exp_f32_e32 v122, v122                                   // 0000000073BC: 7EF4417A
	v_exp_f32_e32 v123, v123                                   // 0000000073C0: 7EF6417B
	v_exp_f32_e32 v124, v124                                   // 0000000073C4: 7EF8417C
	v_exp_f32_e32 v125, v125                                   // 0000000073C8: 7EFA417D
	v_exp_f32_e32 v126, v126                                   // 0000000073CC: 7EFC417E
	v_exp_f32_e32 v127, v127                                   // 0000000073D0: 7EFE417F
	buffer_load_dwordx4 a[104:107], v36, s[20:23], 0 offen     // 0000000073D4: E05C1000 80856824
	v_mul_f32_dpp v240, v252, v112 quad_perm:[0,0,0,0] row_mask:0xf bank_mask:0xf// 0000000073DC: 0BE0E0FA FF0000FC
	v_mul_f32_dpp v241, v252, v113 quad_perm:[1,1,1,1] row_mask:0xf bank_mask:0xf// 0000000073E4: 0BE2E2FA FF0055FC
	v_mul_f32_dpp v242, v252, v114 quad_perm:[2,2,2,2] row_mask:0xf bank_mask:0xf// 0000000073EC: 0BE4E4FA FF00AAFC
	v_mul_f32_dpp v243, v252, v115 quad_perm:[3,3,3,3] row_mask:0xf bank_mask:0xf// 0000000073F4: 0BE6E6FA FF00FFFC
	v_mul_f32_dpp v244, v253, v116 quad_perm:[0,0,0,0] row_mask:0xf bank_mask:0xf// 0000000073FC: 0BE8E8FA FF0000FD
	v_mul_f32_dpp v245, v253, v117 quad_perm:[1,1,1,1] row_mask:0xf bank_mask:0xf// 000000007404: 0BEAEAFA FF0055FD
	v_mul_f32_dpp v246, v253, v118 quad_perm:[2,2,2,2] row_mask:0xf bank_mask:0xf// 00000000740C: 0BECECFA FF00AAFD
	v_mul_f32_dpp v247, v253, v119 quad_perm:[3,3,3,3] row_mask:0xf bank_mask:0xf// 000000007414: 0BEEEEFA FF00FFFD
	v_mul_f32_dpp v248, v254, v120 quad_perm:[0,0,0,0] row_mask:0xf bank_mask:0xf// 00000000741C: 0BF0F0FA FF0000FE
	v_mul_f32_dpp v249, v254, v121 quad_perm:[1,1,1,1] row_mask:0xf bank_mask:0xf// 000000007424: 0BF2F2FA FF0055FE
	v_mul_f32_dpp v250, v254, v122 quad_perm:[2,2,2,2] row_mask:0xf bank_mask:0xf// 00000000742C: 0BF4F4FA FF00AAFE
	v_mul_f32_dpp v251, v254, v123 quad_perm:[3,3,3,3] row_mask:0xf bank_mask:0xf// 000000007434: 0BF6F6FA FF00FFFE
	v_mul_f32_dpp v252, v255, v124 quad_perm:[0,0,0,0] row_mask:0xf bank_mask:0xf// 00000000743C: 0BF8F8FA FF0000FF
	v_mul_f32_dpp v253, v255, v125 quad_perm:[1,1,1,1] row_mask:0xf bank_mask:0xf// 000000007444: 0BFAFAFA FF0055FF
	v_mul_f32_dpp v254, v255, v126 quad_perm:[2,2,2,2] row_mask:0xf bank_mask:0xf// 00000000744C: 0BFCFCFA FF00AAFF
	v_mul_f32_dpp v255, v255, v127 quad_perm:[3,3,3,3] row_mask:0xf bank_mask:0xf// 000000007454: 0BFEFEFA FF00FFFF
	v_mov_b32_e32 v48, 0x358637bd                              // 00000000745C: 7E6002FF 358637BD
	v_max3_f32 v48, |v240|, |v241|, v48                        // 000000007464: D1D30330 04C3E3F0
	v_max3_f32 v48, |v242|, |v243|, v48                        // 00000000746C: D1D30330 04C3E7F2
	v_max3_f32 v48, |v244|, |v245|, v48                        // 000000007474: D1D30330 04C3EBF4
	v_max3_f32 v48, |v246|, |v247|, v48                        // 00000000747C: D1D30330 04C3EFF6
	v_max3_f32 v48, |v248|, |v249|, v48                        // 000000007484: D1D30330 04C3F3F8
	v_max3_f32 v48, |v250|, |v251|, v48                        // 00000000748C: D1D30330 04C3F7FA
	v_max3_f32 v48, |v252|, |v253|, v48                        // 000000007494: D1D30330 04C3FBFC
	v_max3_f32 v48, |v254|, |v255|, v48                        // 00000000749C: D1D30330 04C3FFFE
	buffer_load_dwordx4 a[108:111], v37, s[20:23], 0 offen     // 0000000074A4: E05C1000 80856C25
	ds_write_b32 v8, v48 offset:20992                          // 0000000074AC: D81A5200 00003008
	v_sub_f32_e32 v49, v11, v15                                // 0000000074B4: 04621F0B
	v_cndmask_b32_e64 v49, v49, 0, s[40:41]                    // 0000000074B8: D1000031 00A10131
	v_mov_b32_e32 v11, v15                                     // 0000000074C0: 7E16030F
	v_mul_f32_e32 v49, s64, v49                                // 0000000074C4: 0A626240
	v_exp_f32_e32 v49, v49                                     // 0000000074C8: 7E624131
	s_waitcnt lgkmcnt(0)                                       // 0000000074CC: BF8CC07F
	s_barrier                                                  // 0000000074D0: BF8A0000
	ds_read_b32 v64, v7 offset:20992                           // 0000000074D4: D86C5200 40000007
	ds_read_b32 v65, v7 offset:21056                           // 0000000074DC: D86C5240 41000007
	ds_read_b32 v66, v7 offset:21120                           // 0000000074E4: D86C5280 42000007
	ds_read_b32 v67, v7 offset:21184                           // 0000000074EC: D86C52C0 43000007
	ds_read_b32 v68, v7 offset:21248                           // 0000000074F4: D86C5300 44000007
	ds_read_b32 v69, v7 offset:21312                           // 0000000074FC: D86C5340 45000007
	ds_read_b32 v70, v7 offset:21376                           // 000000007504: D86C5380 46000007
	ds_read_b32 v71, v7 offset:21440                           // 00000000750C: D86C53C0 47000007
	ds_read_b32 v72, v7 offset:21504                           // 000000007514: D86C5400 48000007
	ds_read_b32 v73, v7 offset:21568                           // 00000000751C: D86C5440 49000007
	ds_read_b32 v74, v7 offset:21632                           // 000000007524: D86C5480 4A000007
	ds_read_b32 v75, v7 offset:21696                           // 00000000752C: D86C54C0 4B000007
	ds_read_b32 v76, v7 offset:21760                           // 000000007534: D86C5500 4C000007
	ds_read_b32 v77, v7 offset:21824                           // 00000000753C: D86C5540 4D000007
	ds_read_b32 v78, v7 offset:21888                           // 000000007544: D86C5580 4E000007
	ds_read_b32 v79, v7 offset:21952                           // 00000000754C: D86C55C0 4F000007
	v_mul_f32_e32 v38, v49, v38                                // 000000007554: 0A4C4D31
	v_mov_b32_e32 v15, v112                                    // 000000007558: 7E1E0370
	v_add_f32_e32 v15, v113, v15                               // 00000000755C: 021E1F71
	v_add_f32_e32 v15, v114, v15                               // 000000007560: 021E1F72
	v_add_f32_e32 v15, v115, v15                               // 000000007564: 021E1F73
	v_add_f32_e32 v15, v116, v15                               // 000000007568: 021E1F74
	v_add_f32_e32 v15, v117, v15                               // 00000000756C: 021E1F75
	v_add_f32_e32 v15, v118, v15                               // 000000007570: 021E1F76
	v_add_f32_e32 v15, v119, v15                               // 000000007574: 021E1F77
	v_add_f32_e32 v15, v120, v15                               // 000000007578: 021E1F78
	v_add_f32_e32 v15, v121, v15                               // 00000000757C: 021E1F79
	v_add_f32_e32 v15, v122, v15                               // 000000007580: 021E1F7A
	v_add_f32_e32 v15, v123, v15                               // 000000007584: 021E1F7B
	v_add_f32_e32 v15, v124, v15                               // 000000007588: 021E1F7C
	v_add_f32_e32 v15, v125, v15                               // 00000000758C: 021E1F7D
	v_add_f32_e32 v15, v126, v15                               // 000000007590: 021E1F7E
	v_add_f32_e32 v15, v127, v15                               // 000000007594: 021E1F7F
	v_add_f32_e32 v38, v15, v38                                // 000000007598: 024C4D0F
	s_waitcnt lgkmcnt(0)                                       // 00000000759C: BF8CC07F
	v_max3_f32 v48, |v64|, |v65|, v48                          // 0000000075A0: D1D30330 04C28340
	v_max3_f32 v48, |v66|, |v67|, v48                          // 0000000075A8: D1D30330 04C28742
	v_max3_f32 v48, |v68|, |v69|, v48                          // 0000000075B0: D1D30330 04C28B44
	v_max3_f32 v48, |v70|, |v71|, v48                          // 0000000075B8: D1D30330 04C28F46
	v_max3_f32 v48, |v72|, |v73|, v48                          // 0000000075C0: D1D30330 04C29348
	v_max3_f32 v48, |v74|, |v75|, v48                          // 0000000075C8: D1D30330 04C2974A
	v_max3_f32 v48, |v76|, |v77|, v48                          // 0000000075D0: D1D30330 04C29B4C
	v_max3_f32 v48, |v78|, |v79|, v48                          // 0000000075D8: D1D30330 04C29F4E
	s_nop 2                                                    // 0000000075E0: BF800002
	v_rcp_f32_e32 v48, v48                                     // 0000000075E4: 7E604530
	s_nop 1                                                    // 0000000075E8: BF800001
	v_mul_f32_e32 v48, 0x43e00000, v48                         // 0000000075EC: 0A6060FF 43E00000
	v_mul_f32_e32 v112, v48, v240                              // 0000000075F4: 0AE1E130
	v_mul_f32_e32 v113, v48, v241                              // 0000000075F8: 0AE3E330
	v_mul_f32_e32 v114, v48, v242                              // 0000000075FC: 0AE5E530
	v_mul_f32_e32 v115, v48, v243                              // 000000007600: 0AE7E730
	v_mul_f32_e32 v116, v48, v244                              // 000000007604: 0AE9E930
	v_mul_f32_e32 v117, v48, v245                              // 000000007608: 0AEBEB30
	v_mul_f32_e32 v118, v48, v246                              // 00000000760C: 0AEDED30
	v_mul_f32_e32 v119, v48, v247                              // 000000007610: 0AEFEF30
	v_mul_f32_e32 v120, v48, v248                              // 000000007614: 0AF1F130
	v_mul_f32_e32 v121, v48, v249                              // 000000007618: 0AF3F330
	v_mul_f32_e32 v122, v48, v250                              // 00000000761C: 0AF5F530
	v_mul_f32_e32 v123, v48, v251                              // 000000007620: 0AF7F730
	v_mul_f32_e32 v124, v48, v252                              // 000000007624: 0AF9F930
	v_mul_f32_e32 v125, v48, v253                              // 000000007628: 0AFBFB30
	v_mul_f32_e32 v126, v48, v254                              // 00000000762C: 0AFDFD30
	v_mul_f32_e32 v127, v48, v255                              // 000000007630: 0AFFFF30
	v_cvt_pk_fp8_f32 v112, v112, v113                          // 000000007634: D2A20070 0002E370
	v_cvt_pk_fp8_f32 v112, v114, v115 op_sel:[0,0,1]           // 00000000763C: D2A24070 0002E772
	v_cvt_pk_fp8_f32 v113, v116, v117                          // 000000007644: D2A20071 0002EB74
	v_cvt_pk_fp8_f32 v113, v118, v119 op_sel:[0,0,1]           // 00000000764C: D2A24071 0002EF76
	v_cvt_pk_fp8_f32 v114, v120, v121                          // 000000007654: D2A20072 0002F378
	v_cvt_pk_fp8_f32 v114, v122, v123 op_sel:[0,0,1]           // 00000000765C: D2A24072 0002F77A
	v_cvt_pk_fp8_f32 v115, v124, v125                          // 000000007664: D2A20073 0002FB7C
	v_cvt_pk_fp8_f32 v115, v126, v127 op_sel:[0,0,1]           // 00000000766C: D2A24073 0002FF7E
	ds_write_b32 v10, v112 offset:25088                        // 000000007674: D81A6200 0000700A
	ds_write_b32 v10, v113 offset:26112                        // 00000000767C: D81A6600 0000710A
	ds_write_b32 v10, v114 offset:27136                        // 000000007684: D81A6A00 0000720A
	ds_write_b32 v10, v115 offset:28160                        // 00000000768C: D81A6E00 0000730A
	v_add_f32_e32 v208, v208, v176                             // 000000007694: 03A161D0
	v_add_f32_e32 v209, v209, v177                             // 000000007698: 03A363D1
	v_add_f32_e32 v210, v210, v178                             // 00000000769C: 03A565D2
	v_add_f32_e32 v211, v211, v179                             // 0000000076A0: 03A767D3
	v_add_f32_e32 v212, v212, v180                             // 0000000076A4: 03A969D4
	v_add_f32_e32 v213, v213, v181                             // 0000000076A8: 03AB6BD5
	v_add_f32_e32 v214, v214, v182                             // 0000000076AC: 03AD6DD6
	v_add_f32_e32 v215, v215, v183                             // 0000000076B0: 03AF6FD7
	v_rcp_f32_e32 v44, v48                                     // 0000000076B4: 7E584530
	s_waitcnt lgkmcnt(0)                                       // 0000000076B8: BF8CC07F
	s_barrier                                                  // 0000000076BC: BF8A0000
	ds_read_b64 v[112:113], v9 offset:25088                    // 0000000076C0: D8EC6200 70000009
	ds_read_b64 v[114:115], v9 offset:25216                    // 0000000076C8: D8EC6280 72000009
	ds_read_b64 v[116:117], v9 offset:26112                    // 0000000076D0: D8EC6600 74000009
	ds_read_b64 v[118:119], v9 offset:26240                    // 0000000076D8: D8EC6680 76000009
	ds_read_b64 v[120:121], v9 offset:27136                    // 0000000076E0: D8EC6A00 78000009
	ds_read_b64 v[122:123], v9 offset:27264                    // 0000000076E8: D8EC6A80 7A000009
	ds_read_b64 v[124:125], v9 offset:28160                    // 0000000076F0: D8EC6E00 7C000009
	ds_read_b64 v[126:127], v9 offset:28288                    // 0000000076F8: D8EC6E80 7E000009
	v_mov_b32_dpp v64, v42 row_shr:4 row_mask:0xf bank_mask:0xf// 000000007700: 7E8002FA FF01142A
	v_mov_b32_dpp v65, v42 row_shl:4 row_mask:0xf bank_mask:0xf// 000000007708: 7E8202FA FF01042A
	v_cndmask_b32_e64 v248, v42, v64, s[44:45]                 // 000000007710: D10000F8 00B2812A
	v_cndmask_b32_e64 v249, v65, v42, s[44:45]                 // 000000007718: D10000F9 00B25541
	v_mov_b32_dpp v64, v248 row_shr:8 row_mask:0xf bank_mask:0xf// 000000007720: 7E8002FA FF0118F8
	v_mov_b32_dpp v65, v248 row_shl:8 row_mask:0xf bank_mask:0xf// 000000007728: 7E8202FA FF0108F8
	v_mov_b32_dpp v66, v249 row_shr:8 row_mask:0xf bank_mask:0xf// 000000007730: 7E8402FA FF0118F9
	v_mov_b32_dpp v67, v249 row_shl:8 row_mask:0xf bank_mask:0xf// 000000007738: 7E8602FA FF0108F9
	v_mov_b32_e32 v68, v248                                    // 000000007740: 7E8803F8
	v_mov_b32_e32 v69, v249                                    // 000000007744: 7E8A03F9
	v_cndmask_b32_e64 v248, v68, v64, s[42:43]                 // 000000007748: D10000F8 00AA8144
	v_cndmask_b32_e64 v250, v68, v65, s[78:79]                 // 000000007750: D10000FA 013A8344
	v_cndmask_b32_e64 v249, v69, v66, s[42:43]                 // 000000007758: D10000F9 00AA8545
	v_cndmask_b32_e64 v251, v69, v67, s[78:79]                 // 000000007760: D10000FB 013A8745
	v_mov_b32_dpp v64, v57 row_shr:4 row_mask:0xf bank_mask:0xf// 000000007768: 7E8002FA FF011439
	v_mov_b32_dpp v65, v57 row_shl:4 row_mask:0xf bank_mask:0xf// 000000007770: 7E8202FA FF010439
	v_cndmask_b32_e64 v252, v57, v64, s[44:45]                 // 000000007778: D10000FC 00B28139
	v_cndmask_b32_e64 v253, v65, v57, s[44:45]                 // 000000007780: D10000FD 00B27341
	v_mov_b32_dpp v64, v252 row_shr:8 row_mask:0xf bank_mask:0xf// 000000007788: 7E8002FA FF0118FC
	v_mov_b32_dpp v65, v252 row_shl:8 row_mask:0xf bank_mask:0xf// 000000007790: 7E8202FA FF0108FC
	v_mov_b32_dpp v66, v253 row_shr:8 row_mask:0xf bank_mask:0xf// 000000007798: 7E8402FA FF0118FD
	v_mov_b32_dpp v67, v253 row_shl:8 row_mask:0xf bank_mask:0xf// 0000000077A0: 7E8602FA FF0108FD
	v_mov_b32_e32 v68, v252                                    // 0000000077A8: 7E8803FC
	v_mov_b32_e32 v69, v253                                    // 0000000077AC: 7E8A03FD
	v_cndmask_b32_e64 v252, v68, v64, s[42:43]                 // 0000000077B0: D10000FC 00AA8144
	v_cndmask_b32_e64 v254, v68, v65, s[78:79]                 // 0000000077B8: D10000FE 013A8344
	v_cndmask_b32_e64 v253, v69, v66, s[42:43]                 // 0000000077C0: D10000FD 00AA8545
	v_cndmask_b32_e64 v255, v69, v67, s[78:79]                 // 0000000077C8: D10000FF 013A8745
	v_mul_f32_e32 v128, v19, v128                              // 0000000077D0: 0B010113
	v_mul_f32_e32 v129, v19, v129                              // 0000000077D4: 0B030313
	v_mul_f32_e32 v130, v19, v130                              // 0000000077D8: 0B050513
	v_mul_f32_e32 v131, v19, v131                              // 0000000077DC: 0B070713
	v_mul_f32_e32 v132, v19, v132                              // 0000000077E0: 0B090913
	v_mul_f32_e32 v133, v19, v133                              // 0000000077E4: 0B0B0B13
	v_mul_f32_e32 v134, v19, v134                              // 0000000077E8: 0B0D0D13
	v_mul_f32_e32 v135, v19, v135                              // 0000000077EC: 0B0F0F13
	v_mul_f32_e32 v136, v19, v136                              // 0000000077F0: 0B111113
	v_mul_f32_e32 v137, v19, v137                              // 0000000077F4: 0B131313
	v_mul_f32_e32 v138, v19, v138                              // 0000000077F8: 0B151513
	v_mul_f32_e32 v139, v19, v139                              // 0000000077FC: 0B171713
	v_mul_f32_e32 v140, v19, v140                              // 000000007800: 0B191913
	v_mul_f32_e32 v141, v19, v141                              // 000000007804: 0B1B1B13
	v_mul_f32_e32 v142, v19, v142                              // 000000007808: 0B1D1D13
	v_mul_f32_e32 v143, v19, v143                              // 00000000780C: 0B1F1F13
	v_mul_f32_dpp v128, v248, v128 quad_perm:[0,0,0,0] row_mask:0xf bank_mask:0xf// 000000007810: 0B0100FA FF0000F8
	v_mul_f32_dpp v129, v248, v129 quad_perm:[1,1,1,1] row_mask:0xf bank_mask:0xf// 000000007818: 0B0302FA FF0055F8
	v_mul_f32_dpp v130, v248, v130 quad_perm:[2,2,2,2] row_mask:0xf bank_mask:0xf// 000000007820: 0B0504FA FF00AAF8
	v_mul_f32_dpp v131, v248, v131 quad_perm:[3,3,3,3] row_mask:0xf bank_mask:0xf// 000000007828: 0B0706FA FF00FFF8
	v_mul_f32_dpp v132, v249, v132 quad_perm:[0,0,0,0] row_mask:0xf bank_mask:0xf// 000000007830: 0B0908FA FF0000F9
	v_mul_f32_dpp v133, v249, v133 quad_perm:[1,1,1,1] row_mask:0xf bank_mask:0xf// 000000007838: 0B0B0AFA FF0055F9
	v_mul_f32_dpp v134, v249, v134 quad_perm:[2,2,2,2] row_mask:0xf bank_mask:0xf// 000000007840: 0B0D0CFA FF00AAF9
	v_mul_f32_dpp v135, v249, v135 quad_perm:[3,3,3,3] row_mask:0xf bank_mask:0xf// 000000007848: 0B0F0EFA FF00FFF9
	v_mul_f32_dpp v136, v250, v136 quad_perm:[0,0,0,0] row_mask:0xf bank_mask:0xf// 000000007850: 0B1110FA FF0000FA
	v_mul_f32_dpp v137, v250, v137 quad_perm:[1,1,1,1] row_mask:0xf bank_mask:0xf// 000000007858: 0B1312FA FF0055FA
	v_mul_f32_dpp v138, v250, v138 quad_perm:[2,2,2,2] row_mask:0xf bank_mask:0xf// 000000007860: 0B1514FA FF00AAFA
	v_mul_f32_dpp v139, v250, v139 quad_perm:[3,3,3,3] row_mask:0xf bank_mask:0xf// 000000007868: 0B1716FA FF00FFFA
	v_mul_f32_dpp v140, v251, v140 quad_perm:[0,0,0,0] row_mask:0xf bank_mask:0xf// 000000007870: 0B1918FA FF0000FB
	v_mul_f32_dpp v141, v251, v141 quad_perm:[1,1,1,1] row_mask:0xf bank_mask:0xf// 000000007878: 0B1B1AFA FF0055FB
	v_mul_f32_dpp v142, v251, v142 quad_perm:[2,2,2,2] row_mask:0xf bank_mask:0xf// 000000007880: 0B1D1CFA FF00AAFB
	v_mul_f32_dpp v143, v251, v143 quad_perm:[3,3,3,3] row_mask:0xf bank_mask:0xf// 000000007888: 0B1F1EFA FF00FFFB
	v_mov_b32_e32 v48, v128                                    // 000000007890: 7E600380
	v_max3_f32 v48, v128, v129, v48                            // 000000007894: D1D30030 04C30380
	v_max3_f32 v48, v130, v131, v48                            // 00000000789C: D1D30030 04C30782
	v_max3_f32 v48, v132, v133, v48                            // 0000000078A4: D1D30030 04C30B84
	v_max3_f32 v48, v134, v135, v48                            // 0000000078AC: D1D30030 04C30F86
	v_max3_f32 v48, v136, v137, v48                            // 0000000078B4: D1D30030 04C31388
	v_max3_f32 v48, v138, v139, v48                            // 0000000078BC: D1D30030 04C3178A
	v_max3_f32 v48, v140, v141, v48                            // 0000000078C4: D1D30030 04C31B8C
	v_max3_f32 v48, v142, v143, v48                            // 0000000078CC: D1D30030 04C31F8E
	ds_write_b32 v8, v48 offset:16896                          // 0000000078D4: D81A4200 00003008
	v_mul_f32_e32 v216, v50, v216                              // 0000000078DC: 0BB1B132
	v_mul_f32_e32 v217, v50, v217                              // 0000000078E0: 0BB3B332
	v_mul_f32_e32 v218, v50, v218                              // 0000000078E4: 0BB5B532
	v_mul_f32_e32 v219, v50, v219                              // 0000000078E8: 0BB7B732
	v_mul_f32_e32 v220, v50, v220                              // 0000000078EC: 0BB9B932
	v_mul_f32_e32 v221, v50, v221                              // 0000000078F0: 0BBBBB32
	v_mul_f32_e32 v222, v50, v222                              // 0000000078F4: 0BBDBD32
	v_mul_f32_e32 v223, v50, v223                              // 0000000078F8: 0BBFBF32
	s_waitcnt lgkmcnt(0)                                       // 0000000078FC: BF8CC07F
	s_barrier                                                  // 000000007900: BF8A0000
	ds_read_b32 v64, v7 offset:16896                           // 000000007904: D86C4200 40000007
	ds_read_b32 v65, v7 offset:16960                           // 00000000790C: D86C4240 41000007
	ds_read_b32 v66, v7 offset:17024                           // 000000007914: D86C4280 42000007
	ds_read_b32 v67, v7 offset:17088                           // 00000000791C: D86C42C0 43000007
	ds_read_b32 v68, v7 offset:17152                           // 000000007924: D86C4300 44000007
	ds_read_b32 v69, v7 offset:17216                           // 00000000792C: D86C4340 45000007
	ds_read_b32 v70, v7 offset:17280                           // 000000007934: D86C4380 46000007
	ds_read_b32 v71, v7 offset:17344                           // 00000000793C: D86C43C0 47000007
	ds_read_b32 v72, v7 offset:17408                           // 000000007944: D86C4400 48000007
	ds_read_b32 v73, v7 offset:17472                           // 00000000794C: D86C4440 49000007
	ds_read_b32 v74, v7 offset:17536                           // 000000007954: D86C4480 4A000007
	ds_read_b32 v75, v7 offset:17600                           // 00000000795C: D86C44C0 4B000007
	ds_read_b32 v76, v7 offset:17664                           // 000000007964: D86C4500 4C000007
	ds_read_b32 v77, v7 offset:17728                           // 00000000796C: D86C4540 4D000007
	ds_read_b32 v78, v7 offset:17792                           // 000000007974: D86C4580 4E000007
	ds_read_b32 v79, v7 offset:17856                           // 00000000797C: D86C45C0 4F000007
	v_mul_f32_e32 v184, v45, v184                              // 000000007984: 0B71712D
	v_mul_f32_e32 v185, v45, v185                              // 000000007988: 0B73732D
	v_mul_f32_e32 v186, v45, v186                              // 00000000798C: 0B75752D
	v_mul_f32_e32 v187, v45, v187                              // 000000007990: 0B77772D
	v_mul_f32_e32 v188, v45, v188                              // 000000007994: 0B79792D
	v_mul_f32_e32 v189, v45, v189                              // 000000007998: 0B7B7B2D
	v_mul_f32_e32 v190, v45, v190                              // 00000000799C: 0B7D7D2D
	v_mul_f32_e32 v191, v45, v191                              // 0000000079A0: 0B7F7F2D
	s_waitcnt lgkmcnt(0)                                       // 0000000079A4: BF8CC07F
	v_max3_f32 v48, v64, v65, v48                              // 0000000079A8: D1D30030 04C28340
	v_max3_f32 v48, v66, v67, v48                              // 0000000079B0: D1D30030 04C28742
	v_max3_f32 v48, v68, v69, v48                              // 0000000079B8: D1D30030 04C28B44
	v_max3_f32 v48, v70, v71, v48                              // 0000000079C0: D1D30030 04C28F46
	v_max3_f32 v48, v72, v73, v48                              // 0000000079C8: D1D30030 04C29348
	v_max3_f32 v48, v74, v75, v48                              // 0000000079D0: D1D30030 04C2974A
	v_max3_f32 v48, v76, v77, v48                              // 0000000079D8: D1D30030 04C29B4C
	v_max3_f32 v48, v78, v79, v48                              // 0000000079E0: D1D30030 04C29F4E
	v_mov_b32_e32 v64, 0xff800000                              // 0000000079E8: 7E8002FF FF800000
	v_cmp_eq_u32_e64 s[40:41], v64, v12                        // 0000000079F0: D0CA0028 00021940
	s_nop 1                                                    // 0000000079F8: BF800001
	v_max_f32_e32 v15, v48, v12                                // 0000000079FC: 161E1930
	v_mul_f32_e32 v53, s64, v15                                // 000000007A00: 0A6A1E40
	v_fma_f32 v128, v128, s64, -v53                            // 000000007A04: D1CB0080 84D48180
	v_fma_f32 v129, v129, s64, -v53                            // 000000007A0C: D1CB0081 84D48181
	v_fma_f32 v130, v130, s64, -v53                            // 000000007A14: D1CB0082 84D48182
	v_fma_f32 v131, v131, s64, -v53                            // 000000007A1C: D1CB0083 84D48183
	v_fma_f32 v132, v132, s64, -v53                            // 000000007A24: D1CB0084 84D48184
	v_fma_f32 v133, v133, s64, -v53                            // 000000007A2C: D1CB0085 84D48185
	v_fma_f32 v134, v134, s64, -v53                            // 000000007A34: D1CB0086 84D48186
	v_fma_f32 v135, v135, s64, -v53                            // 000000007A3C: D1CB0087 84D48187
	v_fma_f32 v136, v136, s64, -v53                            // 000000007A44: D1CB0088 84D48188
	v_fma_f32 v137, v137, s64, -v53                            // 000000007A4C: D1CB0089 84D48189
	v_fma_f32 v138, v138, s64, -v53                            // 000000007A54: D1CB008A 84D4818A
	v_fma_f32 v139, v139, s64, -v53                            // 000000007A5C: D1CB008B 84D4818B
	v_fma_f32 v140, v140, s64, -v53                            // 000000007A64: D1CB008C 84D4818C
	v_fma_f32 v141, v141, s64, -v53                            // 000000007A6C: D1CB008D 84D4818D
	v_fma_f32 v142, v142, s64, -v53                            // 000000007A74: D1CB008E 84D4818E
	v_fma_f32 v143, v143, s64, -v53                            // 000000007A7C: D1CB008F 84D4818F
	v_exp_f32_e32 v128, v128                                   // 000000007A84: 7F004180
	v_exp_f32_e32 v129, v129                                   // 000000007A88: 7F024181
	v_exp_f32_e32 v130, v130                                   // 000000007A8C: 7F044182
	v_exp_f32_e32 v131, v131                                   // 000000007A90: 7F064183
	v_exp_f32_e32 v132, v132                                   // 000000007A94: 7F084184
	v_exp_f32_e32 v133, v133                                   // 000000007A98: 7F0A4185
	v_exp_f32_e32 v134, v134                                   // 000000007A9C: 7F0C4186
	v_exp_f32_e32 v135, v135                                   // 000000007AA0: 7F0E4187
	v_exp_f32_e32 v136, v136                                   // 000000007AA4: 7F104188
	v_exp_f32_e32 v137, v137                                   // 000000007AA8: 7F124189
	v_exp_f32_e32 v138, v138                                   // 000000007AAC: 7F14418A
	v_exp_f32_e32 v139, v139                                   // 000000007AB0: 7F16418B
	v_exp_f32_e32 v140, v140                                   // 000000007AB4: 7F18418C
	v_exp_f32_e32 v141, v141                                   // 000000007AB8: 7F1A418D
	v_exp_f32_e32 v142, v142                                   // 000000007ABC: 7F1C418E
	v_exp_f32_e32 v143, v143                                   // 000000007AC0: 7F1E418F
	v_mul_f32_dpp v240, v252, v128 quad_perm:[0,0,0,0] row_mask:0xf bank_mask:0xf// 000000007AC4: 0BE100FA FF0000FC
	v_mul_f32_dpp v241, v252, v129 quad_perm:[1,1,1,1] row_mask:0xf bank_mask:0xf// 000000007ACC: 0BE302FA FF0055FC
	v_mul_f32_dpp v242, v252, v130 quad_perm:[2,2,2,2] row_mask:0xf bank_mask:0xf// 000000007AD4: 0BE504FA FF00AAFC
	v_mul_f32_dpp v243, v252, v131 quad_perm:[3,3,3,3] row_mask:0xf bank_mask:0xf// 000000007ADC: 0BE706FA FF00FFFC
	v_mul_f32_dpp v244, v253, v132 quad_perm:[0,0,0,0] row_mask:0xf bank_mask:0xf// 000000007AE4: 0BE908FA FF0000FD
	v_mul_f32_dpp v245, v253, v133 quad_perm:[1,1,1,1] row_mask:0xf bank_mask:0xf// 000000007AEC: 0BEB0AFA FF0055FD
	v_mul_f32_dpp v246, v253, v134 quad_perm:[2,2,2,2] row_mask:0xf bank_mask:0xf// 000000007AF4: 0BED0CFA FF00AAFD
	v_mul_f32_dpp v247, v253, v135 quad_perm:[3,3,3,3] row_mask:0xf bank_mask:0xf// 000000007AFC: 0BEF0EFA FF00FFFD
	v_mul_f32_dpp v248, v254, v136 quad_perm:[0,0,0,0] row_mask:0xf bank_mask:0xf// 000000007B04: 0BF110FA FF0000FE
	v_mul_f32_dpp v249, v254, v137 quad_perm:[1,1,1,1] row_mask:0xf bank_mask:0xf// 000000007B0C: 0BF312FA FF0055FE
	v_mul_f32_dpp v250, v254, v138 quad_perm:[2,2,2,2] row_mask:0xf bank_mask:0xf// 000000007B14: 0BF514FA FF00AAFE
	v_mul_f32_dpp v251, v254, v139 quad_perm:[3,3,3,3] row_mask:0xf bank_mask:0xf// 000000007B1C: 0BF716FA FF00FFFE
	v_mul_f32_dpp v252, v255, v140 quad_perm:[0,0,0,0] row_mask:0xf bank_mask:0xf// 000000007B24: 0BF918FA FF0000FF
	v_mul_f32_dpp v253, v255, v141 quad_perm:[1,1,1,1] row_mask:0xf bank_mask:0xf// 000000007B2C: 0BFB1AFA FF0055FF
	v_mul_f32_dpp v254, v255, v142 quad_perm:[2,2,2,2] row_mask:0xf bank_mask:0xf// 000000007B34: 0BFD1CFA FF00AAFF
	v_mul_f32_dpp v255, v255, v143 quad_perm:[3,3,3,3] row_mask:0xf bank_mask:0xf// 000000007B3C: 0BFF1EFA FF00FFFF
	v_mov_b32_e32 v48, 0x358637bd                              // 000000007B44: 7E6002FF 358637BD
	v_max3_f32 v48, |v240|, |v241|, v48                        // 000000007B4C: D1D30330 04C3E3F0
	v_max3_f32 v48, |v242|, |v243|, v48                        // 000000007B54: D1D30330 04C3E7F2
	v_max3_f32 v48, |v244|, |v245|, v48                        // 000000007B5C: D1D30330 04C3EBF4
	v_max3_f32 v48, |v246|, |v247|, v48                        // 000000007B64: D1D30330 04C3EFF6
	v_max3_f32 v48, |v248|, |v249|, v48                        // 000000007B6C: D1D30330 04C3F3F8
	v_max3_f32 v48, |v250|, |v251|, v48                        // 000000007B74: D1D30330 04C3F7FA
	v_max3_f32 v48, |v252|, |v253|, v48                        // 000000007B7C: D1D30330 04C3FBFC
	v_max3_f32 v48, |v254|, |v255|, v48                        // 000000007B84: D1D30330 04C3FFFE
	ds_write_b32 v8, v48 offset:20992                          // 000000007B8C: D81A5200 00003008
	v_sub_f32_e32 v50, v12, v15                                // 000000007B94: 04641F0C
	v_cndmask_b32_e64 v50, v50, 0, s[40:41]                    // 000000007B98: D1000032 00A10132
	v_mov_b32_e32 v12, v15                                     // 000000007BA0: 7E18030F
	v_mul_f32_e32 v50, s64, v50                                // 000000007BA4: 0A646440
	v_exp_f32_e32 v50, v50                                     // 000000007BA8: 7E644132
	s_waitcnt lgkmcnt(0)                                       // 000000007BAC: BF8CC07F
	s_barrier                                                  // 000000007BB0: BF8A0000
	ds_read_b32 v64, v7 offset:20992                           // 000000007BB4: D86C5200 40000007
	ds_read_b32 v65, v7 offset:21056                           // 000000007BBC: D86C5240 41000007
	ds_read_b32 v66, v7 offset:21120                           // 000000007BC4: D86C5280 42000007
	ds_read_b32 v67, v7 offset:21184                           // 000000007BCC: D86C52C0 43000007
	ds_read_b32 v68, v7 offset:21248                           // 000000007BD4: D86C5300 44000007
	ds_read_b32 v69, v7 offset:21312                           // 000000007BDC: D86C5340 45000007
	ds_read_b32 v70, v7 offset:21376                           // 000000007BE4: D86C5380 46000007
	ds_read_b32 v71, v7 offset:21440                           // 000000007BEC: D86C53C0 47000007
	ds_read_b32 v72, v7 offset:21504                           // 000000007BF4: D86C5400 48000007
	ds_read_b32 v73, v7 offset:21568                           // 000000007BFC: D86C5440 49000007
	ds_read_b32 v74, v7 offset:21632                           // 000000007C04: D86C5480 4A000007
	ds_read_b32 v75, v7 offset:21696                           // 000000007C0C: D86C54C0 4B000007
	ds_read_b32 v76, v7 offset:21760                           // 000000007C14: D86C5500 4C000007
	ds_read_b32 v77, v7 offset:21824                           // 000000007C1C: D86C5540 4D000007
	ds_read_b32 v78, v7 offset:21888                           // 000000007C24: D86C5580 4E000007
	ds_read_b32 v79, v7 offset:21952                           // 000000007C2C: D86C55C0 4F000007
	v_mul_f32_e32 v39, v50, v39                                // 000000007C34: 0A4E4F32
	v_mov_b32_e32 v15, v128                                    // 000000007C38: 7E1E0380
	v_add_f32_e32 v15, v129, v15                               // 000000007C3C: 021E1F81
	v_add_f32_e32 v15, v130, v15                               // 000000007C40: 021E1F82
	v_add_f32_e32 v15, v131, v15                               // 000000007C44: 021E1F83
	v_add_f32_e32 v15, v132, v15                               // 000000007C48: 021E1F84
	v_add_f32_e32 v15, v133, v15                               // 000000007C4C: 021E1F85
	v_add_f32_e32 v15, v134, v15                               // 000000007C50: 021E1F86
	v_add_f32_e32 v15, v135, v15                               // 000000007C54: 021E1F87
	v_add_f32_e32 v15, v136, v15                               // 000000007C58: 021E1F88
	v_add_f32_e32 v15, v137, v15                               // 000000007C5C: 021E1F89
	v_add_f32_e32 v15, v138, v15                               // 000000007C60: 021E1F8A
	v_add_f32_e32 v15, v139, v15                               // 000000007C64: 021E1F8B
	v_add_f32_e32 v15, v140, v15                               // 000000007C68: 021E1F8C
	v_add_f32_e32 v15, v141, v15                               // 000000007C6C: 021E1F8D
	v_add_f32_e32 v15, v142, v15                               // 000000007C70: 021E1F8E
	v_add_f32_e32 v15, v143, v15                               // 000000007C74: 021E1F8F
	v_add_f32_e32 v39, v15, v39                                // 000000007C78: 024E4F0F
	s_waitcnt lgkmcnt(0)                                       // 000000007C7C: BF8CC07F
	v_max3_f32 v48, |v64|, |v65|, v48                          // 000000007C80: D1D30330 04C28340
	v_max3_f32 v48, |v66|, |v67|, v48                          // 000000007C88: D1D30330 04C28742
	v_max3_f32 v48, |v68|, |v69|, v48                          // 000000007C90: D1D30330 04C28B44
	v_max3_f32 v48, |v70|, |v71|, v48                          // 000000007C98: D1D30330 04C28F46
	v_max3_f32 v48, |v72|, |v73|, v48                          // 000000007CA0: D1D30330 04C29348
	v_max3_f32 v48, |v74|, |v75|, v48                          // 000000007CA8: D1D30330 04C2974A
	v_max3_f32 v48, |v76|, |v77|, v48                          // 000000007CB0: D1D30330 04C29B4C
	v_max3_f32 v48, |v78|, |v79|, v48                          // 000000007CB8: D1D30330 04C29F4E
	s_nop 2                                                    // 000000007CC0: BF800002
	v_rcp_f32_e32 v48, v48                                     // 000000007CC4: 7E604530
	s_nop 1                                                    // 000000007CC8: BF800001
	v_mul_f32_e32 v48, 0x43e00000, v48                         // 000000007CCC: 0A6060FF 43E00000
	v_mul_f32_e32 v128, v48, v240                              // 000000007CD4: 0B01E130
	v_mul_f32_e32 v129, v48, v241                              // 000000007CD8: 0B03E330
	v_mul_f32_e32 v130, v48, v242                              // 000000007CDC: 0B05E530
	v_mul_f32_e32 v131, v48, v243                              // 000000007CE0: 0B07E730
	v_mul_f32_e32 v132, v48, v244                              // 000000007CE4: 0B09E930
	v_mul_f32_e32 v133, v48, v245                              // 000000007CE8: 0B0BEB30
	v_mul_f32_e32 v134, v48, v246                              // 000000007CEC: 0B0DED30
	v_mul_f32_e32 v135, v48, v247                              // 000000007CF0: 0B0FEF30
	v_mul_f32_e32 v136, v48, v248                              // 000000007CF4: 0B11F130
	v_mul_f32_e32 v137, v48, v249                              // 000000007CF8: 0B13F330
	v_mul_f32_e32 v138, v48, v250                              // 000000007CFC: 0B15F530
	v_mul_f32_e32 v139, v48, v251                              // 000000007D00: 0B17F730
	v_mul_f32_e32 v140, v48, v252                              // 000000007D04: 0B19F930
	v_mul_f32_e32 v141, v48, v253                              // 000000007D08: 0B1BFB30
	v_mul_f32_e32 v142, v48, v254                              // 000000007D0C: 0B1DFD30
	v_mul_f32_e32 v143, v48, v255                              // 000000007D10: 0B1FFF30
	v_cvt_pk_fp8_f32 v128, v128, v129                          // 000000007D14: D2A20080 00030380
	v_cvt_pk_fp8_f32 v128, v130, v131 op_sel:[0,0,1]           // 000000007D1C: D2A24080 00030782
	v_cvt_pk_fp8_f32 v129, v132, v133                          // 000000007D24: D2A20081 00030B84
	v_cvt_pk_fp8_f32 v129, v134, v135 op_sel:[0,0,1]           // 000000007D2C: D2A24081 00030F86
	v_cvt_pk_fp8_f32 v130, v136, v137                          // 000000007D34: D2A20082 00031388
	v_cvt_pk_fp8_f32 v130, v138, v139 op_sel:[0,0,1]           // 000000007D3C: D2A24082 0003178A
	v_cvt_pk_fp8_f32 v131, v140, v141                          // 000000007D44: D2A20083 00031B8C
	v_cvt_pk_fp8_f32 v131, v142, v143 op_sel:[0,0,1]           // 000000007D4C: D2A24083 00031F8E
	ds_write_b32 v10, v128 offset:29184                        // 000000007D54: D81A7200 0000800A
	ds_write_b32 v10, v129 offset:30208                        // 000000007D5C: D81A7600 0000810A
	ds_write_b32 v10, v130 offset:31232                        // 000000007D64: D81A7A00 0000820A
	ds_write_b32 v10, v131 offset:32256                        // 000000007D6C: D81A7E00 0000830A
	v_add_f32_e32 v216, v216, v184                             // 000000007D74: 03B171D8
	v_add_f32_e32 v217, v217, v185                             // 000000007D78: 03B373D9
	v_add_f32_e32 v218, v218, v186                             // 000000007D7C: 03B575DA
	v_add_f32_e32 v219, v219, v187                             // 000000007D80: 03B777DB
	v_add_f32_e32 v220, v220, v188                             // 000000007D84: 03B979DC
	v_add_f32_e32 v221, v221, v189                             // 000000007D88: 03BB7BDD
	v_add_f32_e32 v222, v222, v190                             // 000000007D8C: 03BD7DDE
	v_add_f32_e32 v223, v223, v191                             // 000000007D90: 03BF7FDF
	v_rcp_f32_e32 v45, v48                                     // 000000007D94: 7E5A4530
	s_waitcnt lgkmcnt(0)                                       // 000000007D98: BF8CC07F
	s_barrier                                                  // 000000007D9C: BF8A0000
	ds_read_b64 v[128:129], v9 offset:29184                    // 000000007DA0: D8EC7200 80000009
	ds_read_b64 v[130:131], v9 offset:29312                    // 000000007DA8: D8EC7280 82000009
	ds_read_b64 v[132:133], v9 offset:30208                    // 000000007DB0: D8EC7600 84000009
	ds_read_b64 v[134:135], v9 offset:30336                    // 000000007DB8: D8EC7680 86000009
	ds_read_b64 v[136:137], v9 offset:31232                    // 000000007DC0: D8EC7A00 88000009
	ds_read_b64 v[138:139], v9 offset:31360                    // 000000007DC8: D8EC7A80 8A000009
	ds_read_b64 v[140:141], v9 offset:32256                    // 000000007DD0: D8EC7E00 8C000009
	ds_read_b64 v[142:143], v9 offset:32384                    // 000000007DD8: D8EC7E80 8E000009
	s_waitcnt vmcnt(15)                                        // 000000007DE0: BF8C0F7F
	v_mfma_f32_16x16x32_fp8_fp8 v[176:179], a[64:65], v[112:113], 0// 000000007DE4: D3F300B0 0A02E140
	v_mfma_f32_16x16x32_fp8_fp8 v[176:179], a[66:67], v[114:115], v[176:179]// 000000007DEC: D3F300B0 0EC2E542
	buffer_load_dwordx4 a[112:115], v34, s[20:23], 0 offen offset:1024// 000000007DF4: E05C1400 80857022
	v_mfma_f32_16x16x32_fp8_fp8 v[176:179], a[68:69], v[116:117], v[176:179]// 000000007DFC: D3F300B0 0EC2E944
	v_mfma_f32_16x16x32_fp8_fp8 v[176:179], a[70:71], v[118:119], v[176:179]// 000000007E04: D3F300B0 0EC2ED46
	v_mfma_f32_16x16x32_fp8_fp8 v[176:179], a[72:73], v[120:121], v[176:179]// 000000007E0C: D3F300B0 0EC2F148
	v_mfma_f32_16x16x32_fp8_fp8 v[176:179], a[74:75], v[122:123], v[176:179]// 000000007E14: D3F300B0 0EC2F54A
	buffer_load_dwordx4 a[116:119], v35, s[20:23], 0 offen offset:1024// 000000007E1C: E05C1400 80857423
	v_mfma_f32_16x16x32_fp8_fp8 v[176:179], a[76:77], v[124:125], v[176:179]// 000000007E24: D3F300B0 0EC2F94C
	v_mfma_f32_16x16x32_fp8_fp8 v[176:179], a[78:79], v[126:127], v[176:179]// 000000007E2C: D3F300B0 0EC2FD4E
	v_mfma_f32_16x16x32_fp8_fp8 v[180:183], a[80:81], v[112:113], 0// 000000007E34: D3F300B4 0A02E150
	v_mfma_f32_16x16x32_fp8_fp8 v[180:183], a[82:83], v[114:115], v[180:183]// 000000007E3C: D3F300B4 0ED2E552
	buffer_load_dwordx4 a[120:123], v36, s[20:23], 0 offen offset:1024// 000000007E44: E05C1400 80857824
	v_mfma_f32_16x16x32_fp8_fp8 v[180:183], a[84:85], v[116:117], v[180:183]// 000000007E4C: D3F300B4 0ED2E954
	v_mfma_f32_16x16x32_fp8_fp8 v[180:183], a[86:87], v[118:119], v[180:183]// 000000007E54: D3F300B4 0ED2ED56
	v_mfma_f32_16x16x32_fp8_fp8 v[180:183], a[88:89], v[120:121], v[180:183]// 000000007E5C: D3F300B4 0ED2F158
	v_mfma_f32_16x16x32_fp8_fp8 v[180:183], a[90:91], v[122:123], v[180:183]// 000000007E64: D3F300B4 0ED2F55A
	buffer_load_dwordx4 a[124:127], v37, s[20:23], 0 offen offset:1024// 000000007E6C: E05C1400 80857C25
	v_mfma_f32_16x16x32_fp8_fp8 v[180:183], a[92:93], v[124:125], v[180:183]// 000000007E74: D3F300B4 0ED2F95C
	s_lshr_b32 s57, s70, 4                                     // 000000007E7C: 8F398446
	s_add_u32 s57, 48, s57                                     // 000000007E80: 803939B0
	v_mfma_f32_16x16x32_fp8_fp8 v[180:183], a[94:95], v[126:127], v[180:183]// 000000007E84: D3F300B4 0ED2FD5E
	s_cmp_ge_u32 s57, s73                                      // 000000007E8C: BF094939
	s_cselect_b32 s56, 0, s56                                  // 000000007E90: 85383880
	v_mfma_f32_16x16x32_fp8_fp8 v[184:187], a[64:65], v[128:129], 0// 000000007E94: D3F300B8 0A030140
	v_mfma_f32_16x16x32_fp8_fp8 v[184:187], a[66:67], v[130:131], v[184:187]// 000000007E9C: D3F300B8 0EE30542
	v_mfma_f32_16x16x32_fp8_fp8 v[184:187], a[68:69], v[132:133], v[184:187]// 000000007EA4: D3F300B8 0EE30944
	v_mfma_f32_16x16x32_fp8_fp8 v[184:187], a[70:71], v[134:135], v[184:187]// 000000007EAC: D3F300B8 0EE30D46
	v_mfma_f32_16x16x32_fp8_fp8 v[184:187], a[72:73], v[136:137], v[184:187]// 000000007EB4: D3F300B8 0EE31148
	v_mfma_f32_16x16x32_fp8_fp8 v[184:187], a[74:75], v[138:139], v[184:187]// 000000007EBC: D3F300B8 0EE3154A
	v_mfma_f32_16x16x32_fp8_fp8 v[184:187], a[76:77], v[140:141], v[184:187]// 000000007EC4: D3F300B8 0EE3194C
	v_mfma_f32_16x16x32_fp8_fp8 v[184:187], a[78:79], v[142:143], v[184:187]// 000000007ECC: D3F300B8 0EE31D4E
	v_mfma_f32_16x16x32_fp8_fp8 v[188:191], a[80:81], v[128:129], 0// 000000007ED4: D3F300BC 0A030150
	v_mfma_f32_16x16x32_fp8_fp8 v[188:191], a[82:83], v[130:131], v[188:191]// 000000007EDC: D3F300BC 0EF30552
	v_mfma_f32_16x16x32_fp8_fp8 v[188:191], a[84:85], v[132:133], v[188:191]// 000000007EE4: D3F300BC 0EF30954
	v_mfma_f32_16x16x32_fp8_fp8 v[188:191], a[86:87], v[134:135], v[188:191]// 000000007EEC: D3F300BC 0EF30D56
	v_mfma_f32_16x16x32_fp8_fp8 v[188:191], a[88:89], v[136:137], v[188:191]// 000000007EF4: D3F300BC 0EF31158
	v_mfma_f32_16x16x32_fp8_fp8 v[188:191], a[90:91], v[138:139], v[188:191]// 000000007EFC: D3F300BC 0EF3155A
	v_mfma_f32_16x16x32_fp8_fp8 v[188:191], a[92:93], v[140:141], v[188:191]// 000000007F04: D3F300BC 0EF3195C
	v_mfma_f32_16x16x32_fp8_fp8 v[188:191], a[94:95], v[142:143], v[188:191]// 000000007F0C: D3F300BC 0EF31D5E
	v_add_u32_e32 v1, s56, v1                                  // 000000007F14: 68020238
	s_addk_i32 s70, 0x100                                      // 000000007F18: B7460100
	s_cmp_lt_i32 s70, s71                                      // 000000007F1C: BF044746
	s_cbranch_scc0 label_1B88                                  // 000000007F20: BF84043F
	s_waitcnt vmcnt(8) lgkmcnt(0)                              // 000000007F24: BF8C0078
	v_mul_u32_u24_dpp v64, v16, v54 row_newbcast:0 row_mask:0xf bank_mask:0xf// 000000007F28: 10806CFA FF015010
	v_mul_u32_u24_dpp v65, v16, v54 row_newbcast:4 row_mask:0xf bank_mask:0xf// 000000007F30: 10826CFA FF015410
	v_mul_u32_u24_dpp v66, v16, v54 row_newbcast:8 row_mask:0xf bank_mask:0xf// 000000007F38: 10846CFA FF015810
	v_mul_u32_u24_dpp v67, v16, v54 row_newbcast:12 row_mask:0xf bank_mask:0xf// 000000007F40: 10866CFA FF015C10
	v_add_u32_e32 v22, v64, v5                                 // 000000007F48: 682C0B40
	v_add_u32_e32 v23, v65, v5                                 // 000000007F4C: 682E0B41
	v_add_u32_e32 v24, v66, v5                                 // 000000007F50: 68300B42
	v_add_u32_e32 v25, v67, v5                                 // 000000007F54: 68320B43
	v_mul_u32_u24_dpp v64, v16, v63 quad_perm:[0,0,0,0] row_mask:0xf bank_mask:0xf// 000000007F58: 10807EFA FF000010
	v_add_u32_e32 v2, v64, v59                                 // 000000007F60: 68047740
	v_mul_u32_u24_dpp v64, v16, v63 quad_perm:[0,0,0,0] row_mask:0xf bank_mask:0xf// 000000007F64: 10807EFA FF000010
	v_add_u32_e32 v55, v64, v60                                // 000000007F6C: 686E7940
	v_mfma_f32_16x16x32_fp8_fp8 v[112:115], a[32:33], v[80:81], 0// 000000007F70: D3F30070 0A02A120
	v_mfma_f32_16x16x32_fp8_fp8 v[112:115], a[34:35], v[82:83], v[112:115]// 000000007F78: D3F30070 0DC2A522
	buffer_load_dwordx4 a[0:3], v22, s[16:19], 0 offen         // 000000007F80: E05C1000 80840016
	v_mfma_f32_16x16x32_fp8_fp8 v[112:115], a[36:37], v[84:85], v[112:115]// 000000007F88: D3F30070 0DC2A924
	v_mfma_f32_16x16x32_fp8_fp8 v[112:115], a[38:39], v[86:87], v[112:115]// 000000007F90: D3F30070 0DC2AD26
	buffer_load_dword v17, v1, s[24:27], 0 offen               // 000000007F98: E0501000 80061101
	v_mfma_f32_16x16x32_fp8_fp8 v[116:119], a[40:41], v[80:81], 0// 000000007FA0: D3F30074 0A02A128
	v_mfma_f32_16x16x32_fp8_fp8 v[116:119], a[42:43], v[82:83], v[116:119]// 000000007FA8: D3F30074 0DD2A52A
	buffer_load_dwordx4 a[4:7], v22, s[16:19], 0 offen offset:1024// 000000007FB0: E05C1400 80840416
	v_mfma_f32_16x16x32_fp8_fp8 v[116:119], a[44:45], v[84:85], v[116:119]// 000000007FB8: D3F30074 0DD2A92C
	v_mfma_f32_16x16x32_fp8_fp8 v[116:119], a[46:47], v[86:87], v[116:119]// 000000007FC0: D3F30074 0DD2AD2E
	v_mfma_f32_16x16x32_fp8_fp8 v[120:123], a[48:49], v[80:81], 0// 000000007FC8: D3F30078 0A02A130
	v_mfma_f32_16x16x32_fp8_fp8 v[120:123], a[50:51], v[82:83], v[120:123]// 000000007FD0: D3F30078 0DE2A532
	buffer_load_dwordx4 a[8:11], v23, s[16:19], 0 offen        // 000000007FD8: E05C1000 80840817
	v_mfma_f32_16x16x32_fp8_fp8 v[120:123], a[52:53], v[84:85], v[120:123]// 000000007FE0: D3F30078 0DE2A934
	v_mfma_f32_16x16x32_fp8_fp8 v[120:123], a[54:55], v[86:87], v[120:123]// 000000007FE8: D3F30078 0DE2AD36
	v_mfma_f32_16x16x32_fp8_fp8 v[124:127], a[56:57], v[80:81], 0// 000000007FF0: D3F3007C 0A02A138
	v_mfma_f32_16x16x32_fp8_fp8 v[124:127], a[58:59], v[82:83], v[124:127]// 000000007FF8: D3F3007C 0DF2A53A
	buffer_load_dwordx4 a[12:15], v23, s[16:19], 0 offen offset:1024// 000000008000: E05C1400 80840C17
	v_mfma_f32_16x16x32_fp8_fp8 v[124:127], a[60:61], v[84:85], v[124:127]// 000000008008: D3F3007C 0DF2A93C
	v_mfma_f32_16x16x32_fp8_fp8 v[124:127], a[62:63], v[86:87], v[124:127]// 000000008010: D3F3007C 0DF2AD3E
	v_mfma_f32_16x16x32_fp8_fp8 v[128:131], a[32:33], v[88:89], 0// 000000008018: D3F30080 0A02B120
	v_mfma_f32_16x16x32_fp8_fp8 v[128:131], a[34:35], v[90:91], v[128:131]// 000000008020: D3F30080 0E02B522
	v_mfma_f32_16x16x32_fp8_fp8 v[128:131], a[36:37], v[92:93], v[128:131]// 000000008028: D3F30080 0E02B924
	v_mfma_f32_16x16x32_fp8_fp8 v[128:131], a[38:39], v[94:95], v[128:131]// 000000008030: D3F30080 0E02BD26
	v_mfma_f32_16x16x32_fp8_fp8 v[132:135], a[40:41], v[88:89], 0// 000000008038: D3F30084 0A02B128
	v_mfma_f32_16x16x32_fp8_fp8 v[132:135], a[42:43], v[90:91], v[132:135]// 000000008040: D3F30084 0E12B52A
	v_mfma_f32_16x16x32_fp8_fp8 v[132:135], a[44:45], v[92:93], v[132:135]// 000000008048: D3F30084 0E12B92C
	v_mfma_f32_16x16x32_fp8_fp8 v[132:135], a[46:47], v[94:95], v[132:135]// 000000008050: D3F30084 0E12BD2E
	v_mfma_f32_16x16x32_fp8_fp8 v[136:139], a[48:49], v[88:89], 0// 000000008058: D3F30088 0A02B130
	v_mfma_f32_16x16x32_fp8_fp8 v[136:139], a[50:51], v[90:91], v[136:139]// 000000008060: D3F30088 0E22B532
	v_mfma_f32_16x16x32_fp8_fp8 v[136:139], a[52:53], v[92:93], v[136:139]// 000000008068: D3F30088 0E22B934
	v_mfma_f32_16x16x32_fp8_fp8 v[136:139], a[54:55], v[94:95], v[136:139]// 000000008070: D3F30088 0E22BD36
	v_mfma_f32_16x16x32_fp8_fp8 v[140:143], a[56:57], v[88:89], 0// 000000008078: D3F3008C 0A02B138
	v_mfma_f32_16x16x32_fp8_fp8 v[140:143], a[58:59], v[90:91], v[140:143]// 000000008080: D3F3008C 0E32B53A
	v_mfma_f32_16x16x32_fp8_fp8 v[140:143], a[60:61], v[92:93], v[140:143]// 000000008088: D3F3008C 0E32B93C
	v_mfma_f32_16x16x32_fp8_fp8 v[140:143], a[62:63], v[94:95], v[140:143]// 000000008090: D3F3008C 0E32BD3E
	buffer_load_dword v42, v2, s[32:35], 0 offen               // 000000008098: E0501000 80082A02
	v_mov_b32_dpp v64, v43 row_shr:4 row_mask:0xf bank_mask:0xf// 0000000080A0: 7E8002FA FF01142B
	v_mov_b32_dpp v65, v43 row_shl:4 row_mask:0xf bank_mask:0xf// 0000000080A8: 7E8202FA FF01042B
	v_cndmask_b32_e64 v248, v43, v64, s[44:45]                 // 0000000080B0: D10000F8 00B2812B
	v_cndmask_b32_e64 v249, v65, v43, s[44:45]                 // 0000000080B8: D10000F9 00B25741
	v_mov_b32_dpp v64, v248 row_shr:8 row_mask:0xf bank_mask:0xf// 0000000080C0: 7E8002FA FF0118F8
	v_mov_b32_dpp v65, v248 row_shl:8 row_mask:0xf bank_mask:0xf// 0000000080C8: 7E8202FA FF0108F8
	v_mov_b32_dpp v66, v249 row_shr:8 row_mask:0xf bank_mask:0xf// 0000000080D0: 7E8402FA FF0118F9
	v_mov_b32_dpp v67, v249 row_shl:8 row_mask:0xf bank_mask:0xf// 0000000080D8: 7E8602FA FF0108F9
	v_mov_b32_e32 v68, v248                                    // 0000000080E0: 7E8803F8
	v_mov_b32_e32 v69, v249                                    // 0000000080E4: 7E8A03F9
	v_cndmask_b32_e64 v248, v68, v64, s[42:43]                 // 0000000080E8: D10000F8 00AA8144
	v_cndmask_b32_e64 v250, v68, v65, s[78:79]                 // 0000000080F0: D10000FA 013A8344
	v_cndmask_b32_e64 v249, v69, v66, s[42:43]                 // 0000000080F8: D10000F9 00AA8545
	v_cndmask_b32_e64 v251, v69, v67, s[78:79]                 // 000000008100: D10000FB 013A8745
	v_mov_b32_dpp v64, v58 row_shr:4 row_mask:0xf bank_mask:0xf// 000000008108: 7E8002FA FF01143A
	v_mov_b32_dpp v65, v58 row_shl:4 row_mask:0xf bank_mask:0xf// 000000008110: 7E8202FA FF01043A
	v_cndmask_b32_e64 v252, v58, v64, s[44:45]                 // 000000008118: D10000FC 00B2813A
	v_cndmask_b32_e64 v253, v65, v58, s[44:45]                 // 000000008120: D10000FD 00B27541
	v_mov_b32_dpp v64, v252 row_shr:8 row_mask:0xf bank_mask:0xf// 000000008128: 7E8002FA FF0118FC
	v_mov_b32_dpp v65, v252 row_shl:8 row_mask:0xf bank_mask:0xf// 000000008130: 7E8202FA FF0108FC
	v_mov_b32_dpp v66, v253 row_shr:8 row_mask:0xf bank_mask:0xf// 000000008138: 7E8402FA FF0118FD
	v_mov_b32_dpp v67, v253 row_shl:8 row_mask:0xf bank_mask:0xf// 000000008140: 7E8602FA FF0108FD
	v_mov_b32_e32 v68, v252                                    // 000000008148: 7E8803FC
	v_mov_b32_e32 v69, v253                                    // 00000000814C: 7E8A03FD
	v_cndmask_b32_e64 v252, v68, v64, s[42:43]                 // 000000008150: D10000FC 00AA8144
	v_cndmask_b32_e64 v254, v68, v65, s[78:79]                 // 000000008158: D10000FE 013A8344
	v_cndmask_b32_e64 v253, v69, v66, s[42:43]                 // 000000008160: D10000FD 00AA8545
	v_cndmask_b32_e64 v255, v69, v67, s[78:79]                 // 000000008168: D10000FF 013A8745
	buffer_load_dword v57, v55, s[36:39], 0 offen              // 000000008170: E0501000 80093937
	v_mul_f32_e32 v112, v18, v112                              // 000000008178: 0AE0E112
	v_mul_f32_e32 v113, v18, v113                              // 00000000817C: 0AE2E312
	v_mul_f32_e32 v114, v18, v114                              // 000000008180: 0AE4E512
	v_mul_f32_e32 v115, v18, v115                              // 000000008184: 0AE6E712
	v_mul_f32_e32 v116, v18, v116                              // 000000008188: 0AE8E912
	v_mul_f32_e32 v117, v18, v117                              // 00000000818C: 0AEAEB12
	v_mul_f32_e32 v118, v18, v118                              // 000000008190: 0AECED12
	v_mul_f32_e32 v119, v18, v119                              // 000000008194: 0AEEEF12
	v_mul_f32_e32 v120, v18, v120                              // 000000008198: 0AF0F112
	v_mul_f32_e32 v121, v18, v121                              // 00000000819C: 0AF2F312
	v_mul_f32_e32 v122, v18, v122                              // 0000000081A0: 0AF4F512
	v_mul_f32_e32 v123, v18, v123                              // 0000000081A4: 0AF6F712
	v_mul_f32_e32 v124, v18, v124                              // 0000000081A8: 0AF8F912
	v_mul_f32_e32 v125, v18, v125                              // 0000000081AC: 0AFAFB12
	v_mul_f32_e32 v126, v18, v126                              // 0000000081B0: 0AFCFD12
	v_mul_f32_e32 v127, v18, v127                              // 0000000081B4: 0AFEFF12
	buffer_load_dwordx4 a[16:19], v24, s[16:19], 0 offen       // 0000000081B8: E05C1000 80841018
	v_mul_f32_dpp v112, v248, v112 quad_perm:[0,0,0,0] row_mask:0xf bank_mask:0xf// 0000000081C0: 0AE0E0FA FF0000F8
	v_mul_f32_dpp v113, v248, v113 quad_perm:[1,1,1,1] row_mask:0xf bank_mask:0xf// 0000000081C8: 0AE2E2FA FF0055F8
	v_mul_f32_dpp v114, v248, v114 quad_perm:[2,2,2,2] row_mask:0xf bank_mask:0xf// 0000000081D0: 0AE4E4FA FF00AAF8
	v_mul_f32_dpp v115, v248, v115 quad_perm:[3,3,3,3] row_mask:0xf bank_mask:0xf// 0000000081D8: 0AE6E6FA FF00FFF8
	v_mul_f32_dpp v116, v249, v116 quad_perm:[0,0,0,0] row_mask:0xf bank_mask:0xf// 0000000081E0: 0AE8E8FA FF0000F9
	v_mul_f32_dpp v117, v249, v117 quad_perm:[1,1,1,1] row_mask:0xf bank_mask:0xf// 0000000081E8: 0AEAEAFA FF0055F9
	v_mul_f32_dpp v118, v249, v118 quad_perm:[2,2,2,2] row_mask:0xf bank_mask:0xf// 0000000081F0: 0AECECFA FF00AAF9
	v_mul_f32_dpp v119, v249, v119 quad_perm:[3,3,3,3] row_mask:0xf bank_mask:0xf// 0000000081F8: 0AEEEEFA FF00FFF9
	v_mul_f32_dpp v120, v250, v120 quad_perm:[0,0,0,0] row_mask:0xf bank_mask:0xf// 000000008200: 0AF0F0FA FF0000FA
	v_mul_f32_dpp v121, v250, v121 quad_perm:[1,1,1,1] row_mask:0xf bank_mask:0xf// 000000008208: 0AF2F2FA FF0055FA
	v_mul_f32_dpp v122, v250, v122 quad_perm:[2,2,2,2] row_mask:0xf bank_mask:0xf// 000000008210: 0AF4F4FA FF00AAFA
	v_mul_f32_dpp v123, v250, v123 quad_perm:[3,3,3,3] row_mask:0xf bank_mask:0xf// 000000008218: 0AF6F6FA FF00FFFA
	v_mul_f32_dpp v124, v251, v124 quad_perm:[0,0,0,0] row_mask:0xf bank_mask:0xf// 000000008220: 0AF8F8FA FF0000FB
	v_mul_f32_dpp v125, v251, v125 quad_perm:[1,1,1,1] row_mask:0xf bank_mask:0xf// 000000008228: 0AFAFAFA FF0055FB
	v_mul_f32_dpp v126, v251, v126 quad_perm:[2,2,2,2] row_mask:0xf bank_mask:0xf// 000000008230: 0AFCFCFA FF00AAFB
	v_mul_f32_dpp v127, v251, v127 quad_perm:[3,3,3,3] row_mask:0xf bank_mask:0xf// 000000008238: 0AFEFEFA FF00FFFB
	buffer_load_dwordx4 a[20:23], v24, s[16:19], 0 offen offset:1024// 000000008240: E05C1400 80841418
	v_mov_b32_e32 v48, v112                                    // 000000008248: 7E600370
	v_max3_f32 v48, v112, v113, v48                            // 00000000824C: D1D30030 04C2E370
	v_max3_f32 v48, v114, v115, v48                            // 000000008254: D1D30030 04C2E772
	v_max3_f32 v48, v116, v117, v48                            // 00000000825C: D1D30030 04C2EB74
	v_max3_f32 v48, v118, v119, v48                            // 000000008264: D1D30030 04C2EF76
	v_max3_f32 v48, v120, v121, v48                            // 00000000826C: D1D30030 04C2F378
	v_max3_f32 v48, v122, v123, v48                            // 000000008274: D1D30030 04C2F77A
	v_max3_f32 v48, v124, v125, v48                            // 00000000827C: D1D30030 04C2FB7C
	v_max3_f32 v48, v126, v127, v48                            // 000000008284: D1D30030 04C2FF7E
	ds_write_b32 v8, v48 offset:16896                          // 00000000828C: D81A4200 00003008
	buffer_load_dwordx4 a[24:27], v25, s[16:19], 0 offen       // 000000008294: E05C1000 80841819
	v_mul_u32_u24_dpp v64, v16, v54 row_newbcast:1 row_mask:0xf bank_mask:0xf// 00000000829C: 10806CFA FF015110
	v_mul_u32_u24_dpp v65, v16, v54 row_newbcast:5 row_mask:0xf bank_mask:0xf// 0000000082A4: 10826CFA FF015510
	v_mul_u32_u24_dpp v66, v16, v54 row_newbcast:9 row_mask:0xf bank_mask:0xf// 0000000082AC: 10846CFA FF015910
	v_mul_u32_u24_dpp v67, v16, v54 row_newbcast:13 row_mask:0xf bank_mask:0xf// 0000000082B4: 10866CFA FF015D10
	v_add_u32_e32 v30, v64, v6                                 // 0000000082BC: 683C0D40
	v_add_u32_e32 v31, v65, v6                                 // 0000000082C0: 683E0D41
	v_add_u32_e32 v32, v66, v6                                 // 0000000082C4: 68400D42
	v_add_u32_e32 v33, v67, v6                                 // 0000000082C8: 68420D43
	v_mul_f32_e32 v208, v49, v208                              // 0000000082CC: 0BA1A131
	v_mul_f32_e32 v209, v49, v209                              // 0000000082D0: 0BA3A331
	v_mul_f32_e32 v210, v49, v210                              // 0000000082D4: 0BA5A531
	v_mul_f32_e32 v211, v49, v211                              // 0000000082D8: 0BA7A731
	v_mul_f32_e32 v212, v49, v212                              // 0000000082DC: 0BA9A931
	v_mul_f32_e32 v213, v49, v213                              // 0000000082E0: 0BABAB31
	v_mul_f32_e32 v214, v49, v214                              // 0000000082E4: 0BADAD31
	v_mul_f32_e32 v215, v49, v215                              // 0000000082E8: 0BAFAF31
	s_waitcnt lgkmcnt(0)                                       // 0000000082EC: BF8CC07F
	s_barrier                                                  // 0000000082F0: BF8A0000
	ds_read_b32 v64, v7 offset:16896                           // 0000000082F4: D86C4200 40000007
	ds_read_b32 v65, v7 offset:16960                           // 0000000082FC: D86C4240 41000007
	ds_read_b32 v66, v7 offset:17024                           // 000000008304: D86C4280 42000007
	ds_read_b32 v67, v7 offset:17088                           // 00000000830C: D86C42C0 43000007
	ds_read_b32 v68, v7 offset:17152                           // 000000008314: D86C4300 44000007
	ds_read_b32 v69, v7 offset:17216                           // 00000000831C: D86C4340 45000007
	ds_read_b32 v70, v7 offset:17280                           // 000000008324: D86C4380 46000007
	ds_read_b32 v71, v7 offset:17344                           // 00000000832C: D86C43C0 47000007
	ds_read_b32 v72, v7 offset:17408                           // 000000008334: D86C4400 48000007
	ds_read_b32 v73, v7 offset:17472                           // 00000000833C: D86C4440 49000007
	ds_read_b32 v74, v7 offset:17536                           // 000000008344: D86C4480 4A000007
	ds_read_b32 v75, v7 offset:17600                           // 00000000834C: D86C44C0 4B000007
	ds_read_b32 v76, v7 offset:17664                           // 000000008354: D86C4500 4C000007
	ds_read_b32 v77, v7 offset:17728                           // 00000000835C: D86C4540 4D000007
	ds_read_b32 v78, v7 offset:17792                           // 000000008364: D86C4580 4E000007
	ds_read_b32 v79, v7 offset:17856                           // 00000000836C: D86C45C0 4F000007
	buffer_load_dwordx4 a[28:31], v25, s[16:19], 0 offen offset:1024// 000000008374: E05C1400 80841C19
	v_mul_f32_e32 v176, v44, v176                              // 00000000837C: 0B61612C
	v_mul_f32_e32 v177, v44, v177                              // 000000008380: 0B63632C
	v_mul_f32_e32 v178, v44, v178                              // 000000008384: 0B65652C
	v_mul_f32_e32 v179, v44, v179                              // 000000008388: 0B67672C
	v_mul_f32_e32 v180, v44, v180                              // 00000000838C: 0B69692C
	v_mul_f32_e32 v181, v44, v181                              // 000000008390: 0B6B6B2C
	v_mul_f32_e32 v182, v44, v182                              // 000000008394: 0B6D6D2C
	v_mul_f32_e32 v183, v44, v183                              // 000000008398: 0B6F6F2C
	s_waitcnt lgkmcnt(0)                                       // 00000000839C: BF8CC07F
	v_max3_f32 v48, v64, v65, v48                              // 0000000083A0: D1D30030 04C28340
	v_max3_f32 v48, v66, v67, v48                              // 0000000083A8: D1D30030 04C28742
	v_max3_f32 v48, v68, v69, v48                              // 0000000083B0: D1D30030 04C28B44
	v_max3_f32 v48, v70, v71, v48                              // 0000000083B8: D1D30030 04C28F46
	v_max3_f32 v48, v72, v73, v48                              // 0000000083C0: D1D30030 04C29348
	v_max3_f32 v48, v74, v75, v48                              // 0000000083C8: D1D30030 04C2974A
	v_max3_f32 v48, v76, v77, v48                              // 0000000083D0: D1D30030 04C29B4C
	v_max3_f32 v48, v78, v79, v48                              // 0000000083D8: D1D30030 04C29F4E
	buffer_load_dwordx4 a[64:67], v30, s[20:23], 0 offen       // 0000000083E0: E05C1000 8085401E
	v_mov_b32_e32 v64, 0xff800000                              // 0000000083E8: 7E8002FF FF800000
	v_cmp_eq_u32_e64 s[40:41], v64, v11                        // 0000000083F0: D0CA0028 00021740
	s_nop 1                                                    // 0000000083F8: BF800001
	v_max_f32_e32 v15, v48, v11                                // 0000000083FC: 161E1730
	v_mul_f32_e32 v53, s64, v15                                // 000000008400: 0A6A1E40
	v_fma_f32 v112, v112, s64, -v53                            // 000000008404: D1CB0070 84D48170
	v_fma_f32 v113, v113, s64, -v53                            // 00000000840C: D1CB0071 84D48171
	v_fma_f32 v114, v114, s64, -v53                            // 000000008414: D1CB0072 84D48172
	v_fma_f32 v115, v115, s64, -v53                            // 00000000841C: D1CB0073 84D48173
	v_fma_f32 v116, v116, s64, -v53                            // 000000008424: D1CB0074 84D48174
	v_fma_f32 v117, v117, s64, -v53                            // 00000000842C: D1CB0075 84D48175
	v_fma_f32 v118, v118, s64, -v53                            // 000000008434: D1CB0076 84D48176
	v_fma_f32 v119, v119, s64, -v53                            // 00000000843C: D1CB0077 84D48177
	v_fma_f32 v120, v120, s64, -v53                            // 000000008444: D1CB0078 84D48178
	v_fma_f32 v121, v121, s64, -v53                            // 00000000844C: D1CB0079 84D48179
	v_fma_f32 v122, v122, s64, -v53                            // 000000008454: D1CB007A 84D4817A
	v_fma_f32 v123, v123, s64, -v53                            // 00000000845C: D1CB007B 84D4817B
	v_fma_f32 v124, v124, s64, -v53                            // 000000008464: D1CB007C 84D4817C
	v_fma_f32 v125, v125, s64, -v53                            // 00000000846C: D1CB007D 84D4817D
	v_fma_f32 v126, v126, s64, -v53                            // 000000008474: D1CB007E 84D4817E
	v_fma_f32 v127, v127, s64, -v53                            // 00000000847C: D1CB007F 84D4817F
	buffer_load_dwordx4 a[68:71], v31, s[20:23], 0 offen       // 000000008484: E05C1000 8085441F
	v_exp_f32_e32 v112, v112                                   // 00000000848C: 7EE04170
	v_exp_f32_e32 v113, v113                                   // 000000008490: 7EE24171
	v_exp_f32_e32 v114, v114                                   // 000000008494: 7EE44172
	v_exp_f32_e32 v115, v115                                   // 000000008498: 7EE64173
	v_exp_f32_e32 v116, v116                                   // 00000000849C: 7EE84174
	v_exp_f32_e32 v117, v117                                   // 0000000084A0: 7EEA4175
	v_exp_f32_e32 v118, v118                                   // 0000000084A4: 7EEC4176
	v_exp_f32_e32 v119, v119                                   // 0000000084A8: 7EEE4177
	v_exp_f32_e32 v120, v120                                   // 0000000084AC: 7EF04178
	v_exp_f32_e32 v121, v121                                   // 0000000084B0: 7EF24179
	v_exp_f32_e32 v122, v122                                   // 0000000084B4: 7EF4417A
	v_exp_f32_e32 v123, v123                                   // 0000000084B8: 7EF6417B
	v_exp_f32_e32 v124, v124                                   // 0000000084BC: 7EF8417C
	v_exp_f32_e32 v125, v125                                   // 0000000084C0: 7EFA417D
	v_exp_f32_e32 v126, v126                                   // 0000000084C4: 7EFC417E
	v_exp_f32_e32 v127, v127                                   // 0000000084C8: 7EFE417F
	buffer_load_dwordx4 a[72:75], v32, s[20:23], 0 offen       // 0000000084CC: E05C1000 80854820
	v_mul_f32_dpp v240, v252, v112 quad_perm:[0,0,0,0] row_mask:0xf bank_mask:0xf// 0000000084D4: 0BE0E0FA FF0000FC
	v_mul_f32_dpp v241, v252, v113 quad_perm:[1,1,1,1] row_mask:0xf bank_mask:0xf// 0000000084DC: 0BE2E2FA FF0055FC
	v_mul_f32_dpp v242, v252, v114 quad_perm:[2,2,2,2] row_mask:0xf bank_mask:0xf// 0000000084E4: 0BE4E4FA FF00AAFC
	v_mul_f32_dpp v243, v252, v115 quad_perm:[3,3,3,3] row_mask:0xf bank_mask:0xf// 0000000084EC: 0BE6E6FA FF00FFFC
	v_mul_f32_dpp v244, v253, v116 quad_perm:[0,0,0,0] row_mask:0xf bank_mask:0xf// 0000000084F4: 0BE8E8FA FF0000FD
	v_mul_f32_dpp v245, v253, v117 quad_perm:[1,1,1,1] row_mask:0xf bank_mask:0xf// 0000000084FC: 0BEAEAFA FF0055FD
	v_mul_f32_dpp v246, v253, v118 quad_perm:[2,2,2,2] row_mask:0xf bank_mask:0xf// 000000008504: 0BECECFA FF00AAFD
	v_mul_f32_dpp v247, v253, v119 quad_perm:[3,3,3,3] row_mask:0xf bank_mask:0xf// 00000000850C: 0BEEEEFA FF00FFFD
	v_mul_f32_dpp v248, v254, v120 quad_perm:[0,0,0,0] row_mask:0xf bank_mask:0xf// 000000008514: 0BF0F0FA FF0000FE
	v_mul_f32_dpp v249, v254, v121 quad_perm:[1,1,1,1] row_mask:0xf bank_mask:0xf// 00000000851C: 0BF2F2FA FF0055FE
	v_mul_f32_dpp v250, v254, v122 quad_perm:[2,2,2,2] row_mask:0xf bank_mask:0xf// 000000008524: 0BF4F4FA FF00AAFE
	v_mul_f32_dpp v251, v254, v123 quad_perm:[3,3,3,3] row_mask:0xf bank_mask:0xf// 00000000852C: 0BF6F6FA FF00FFFE
	v_mul_f32_dpp v252, v255, v124 quad_perm:[0,0,0,0] row_mask:0xf bank_mask:0xf// 000000008534: 0BF8F8FA FF0000FF
	v_mul_f32_dpp v253, v255, v125 quad_perm:[1,1,1,1] row_mask:0xf bank_mask:0xf// 00000000853C: 0BFAFAFA FF0055FF
	v_mul_f32_dpp v254, v255, v126 quad_perm:[2,2,2,2] row_mask:0xf bank_mask:0xf// 000000008544: 0BFCFCFA FF00AAFF
	v_mul_f32_dpp v255, v255, v127 quad_perm:[3,3,3,3] row_mask:0xf bank_mask:0xf// 00000000854C: 0BFEFEFA FF00FFFF
	v_mov_b32_e32 v48, 0x358637bd                              // 000000008554: 7E6002FF 358637BD
	v_max3_f32 v48, |v240|, |v241|, v48                        // 00000000855C: D1D30330 04C3E3F0
	v_max3_f32 v48, |v242|, |v243|, v48                        // 000000008564: D1D30330 04C3E7F2
	v_max3_f32 v48, |v244|, |v245|, v48                        // 00000000856C: D1D30330 04C3EBF4
	v_max3_f32 v48, |v246|, |v247|, v48                        // 000000008574: D1D30330 04C3EFF6
	v_max3_f32 v48, |v248|, |v249|, v48                        // 00000000857C: D1D30330 04C3F3F8
	v_max3_f32 v48, |v250|, |v251|, v48                        // 000000008584: D1D30330 04C3F7FA
	v_max3_f32 v48, |v252|, |v253|, v48                        // 00000000858C: D1D30330 04C3FBFC
	v_max3_f32 v48, |v254|, |v255|, v48                        // 000000008594: D1D30330 04C3FFFE
	buffer_load_dwordx4 a[76:79], v33, s[20:23], 0 offen       // 00000000859C: E05C1000 80854C21
	ds_write_b32 v8, v48 offset:20992                          // 0000000085A4: D81A5200 00003008
	v_sub_f32_e32 v49, v11, v15                                // 0000000085AC: 04621F0B
	v_cndmask_b32_e64 v49, v49, 0, s[40:41]                    // 0000000085B0: D1000031 00A10131
	v_mov_b32_e32 v11, v15                                     // 0000000085B8: 7E16030F
	v_mul_f32_e32 v49, s64, v49                                // 0000000085BC: 0A626240
	v_exp_f32_e32 v49, v49                                     // 0000000085C0: 7E624131
	s_waitcnt lgkmcnt(0)                                       // 0000000085C4: BF8CC07F
	s_barrier                                                  // 0000000085C8: BF8A0000
	ds_read_b32 v64, v7 offset:20992                           // 0000000085CC: D86C5200 40000007
	ds_read_b32 v65, v7 offset:21056                           // 0000000085D4: D86C5240 41000007
	ds_read_b32 v66, v7 offset:21120                           // 0000000085DC: D86C5280 42000007
	ds_read_b32 v67, v7 offset:21184                           // 0000000085E4: D86C52C0 43000007
	ds_read_b32 v68, v7 offset:21248                           // 0000000085EC: D86C5300 44000007
	ds_read_b32 v69, v7 offset:21312                           // 0000000085F4: D86C5340 45000007
	ds_read_b32 v70, v7 offset:21376                           // 0000000085FC: D86C5380 46000007
	ds_read_b32 v71, v7 offset:21440                           // 000000008604: D86C53C0 47000007
	ds_read_b32 v72, v7 offset:21504                           // 00000000860C: D86C5400 48000007
	ds_read_b32 v73, v7 offset:21568                           // 000000008614: D86C5440 49000007
	ds_read_b32 v74, v7 offset:21632                           // 00000000861C: D86C5480 4A000007
	ds_read_b32 v75, v7 offset:21696                           // 000000008624: D86C54C0 4B000007
	ds_read_b32 v76, v7 offset:21760                           // 00000000862C: D86C5500 4C000007
	ds_read_b32 v77, v7 offset:21824                           // 000000008634: D86C5540 4D000007
	ds_read_b32 v78, v7 offset:21888                           // 00000000863C: D86C5580 4E000007
	ds_read_b32 v79, v7 offset:21952                           // 000000008644: D86C55C0 4F000007
	v_mul_f32_e32 v38, v49, v38                                // 00000000864C: 0A4C4D31
	v_mov_b32_e32 v15, v112                                    // 000000008650: 7E1E0370
	v_add_f32_e32 v15, v113, v15                               // 000000008654: 021E1F71
	v_add_f32_e32 v15, v114, v15                               // 000000008658: 021E1F72
	v_add_f32_e32 v15, v115, v15                               // 00000000865C: 021E1F73
	v_add_f32_e32 v15, v116, v15                               // 000000008660: 021E1F74
	v_add_f32_e32 v15, v117, v15                               // 000000008664: 021E1F75
	v_add_f32_e32 v15, v118, v15                               // 000000008668: 021E1F76
	v_add_f32_e32 v15, v119, v15                               // 00000000866C: 021E1F77
	v_add_f32_e32 v15, v120, v15                               // 000000008670: 021E1F78
	v_add_f32_e32 v15, v121, v15                               // 000000008674: 021E1F79
	v_add_f32_e32 v15, v122, v15                               // 000000008678: 021E1F7A
	v_add_f32_e32 v15, v123, v15                               // 00000000867C: 021E1F7B
	v_add_f32_e32 v15, v124, v15                               // 000000008680: 021E1F7C
	v_add_f32_e32 v15, v125, v15                               // 000000008684: 021E1F7D
	v_add_f32_e32 v15, v126, v15                               // 000000008688: 021E1F7E
	v_add_f32_e32 v15, v127, v15                               // 00000000868C: 021E1F7F
	v_add_f32_e32 v38, v15, v38                                // 000000008690: 024C4D0F
	s_waitcnt lgkmcnt(0)                                       // 000000008694: BF8CC07F
	v_max3_f32 v48, |v64|, |v65|, v48                          // 000000008698: D1D30330 04C28340
	v_max3_f32 v48, |v66|, |v67|, v48                          // 0000000086A0: D1D30330 04C28742
	v_max3_f32 v48, |v68|, |v69|, v48                          // 0000000086A8: D1D30330 04C28B44
	v_max3_f32 v48, |v70|, |v71|, v48                          // 0000000086B0: D1D30330 04C28F46
	v_max3_f32 v48, |v72|, |v73|, v48                          // 0000000086B8: D1D30330 04C29348
	v_max3_f32 v48, |v74|, |v75|, v48                          // 0000000086C0: D1D30330 04C2974A
	v_max3_f32 v48, |v76|, |v77|, v48                          // 0000000086C8: D1D30330 04C29B4C
	v_max3_f32 v48, |v78|, |v79|, v48                          // 0000000086D0: D1D30330 04C29F4E
	s_nop 2                                                    // 0000000086D8: BF800002
	v_rcp_f32_e32 v48, v48                                     // 0000000086DC: 7E604530
	s_nop 1                                                    // 0000000086E0: BF800001
	v_mul_f32_e32 v48, 0x43e00000, v48                         // 0000000086E4: 0A6060FF 43E00000
	v_mul_f32_e32 v112, v48, v240                              // 0000000086EC: 0AE1E130
	v_mul_f32_e32 v113, v48, v241                              // 0000000086F0: 0AE3E330
	v_mul_f32_e32 v114, v48, v242                              // 0000000086F4: 0AE5E530
	v_mul_f32_e32 v115, v48, v243                              // 0000000086F8: 0AE7E730
	v_mul_f32_e32 v116, v48, v244                              // 0000000086FC: 0AE9E930
	v_mul_f32_e32 v117, v48, v245                              // 000000008700: 0AEBEB30
	v_mul_f32_e32 v118, v48, v246                              // 000000008704: 0AEDED30
	v_mul_f32_e32 v119, v48, v247                              // 000000008708: 0AEFEF30
	v_mul_f32_e32 v120, v48, v248                              // 00000000870C: 0AF1F130
	v_mul_f32_e32 v121, v48, v249                              // 000000008710: 0AF3F330
	v_mul_f32_e32 v122, v48, v250                              // 000000008714: 0AF5F530
	v_mul_f32_e32 v123, v48, v251                              // 000000008718: 0AF7F730
	v_mul_f32_e32 v124, v48, v252                              // 00000000871C: 0AF9F930
	v_mul_f32_e32 v125, v48, v253                              // 000000008720: 0AFBFB30
	v_mul_f32_e32 v126, v48, v254                              // 000000008724: 0AFDFD30
	v_mul_f32_e32 v127, v48, v255                              // 000000008728: 0AFFFF30
	v_cvt_pk_fp8_f32 v112, v112, v113                          // 00000000872C: D2A20070 0002E370
	v_cvt_pk_fp8_f32 v112, v114, v115 op_sel:[0,0,1]           // 000000008734: D2A24070 0002E772
	v_cvt_pk_fp8_f32 v113, v116, v117                          // 00000000873C: D2A20071 0002EB74
	v_cvt_pk_fp8_f32 v113, v118, v119 op_sel:[0,0,1]           // 000000008744: D2A24071 0002EF76
	v_cvt_pk_fp8_f32 v114, v120, v121                          // 00000000874C: D2A20072 0002F378
	v_cvt_pk_fp8_f32 v114, v122, v123 op_sel:[0,0,1]           // 000000008754: D2A24072 0002F77A
	v_cvt_pk_fp8_f32 v115, v124, v125                          // 00000000875C: D2A20073 0002FB7C
	v_cvt_pk_fp8_f32 v115, v126, v127 op_sel:[0,0,1]           // 000000008764: D2A24073 0002FF7E
	ds_write_b32 v10, v112 offset:25088                        // 00000000876C: D81A6200 0000700A
	ds_write_b32 v10, v113 offset:26112                        // 000000008774: D81A6600 0000710A
	ds_write_b32 v10, v114 offset:27136                        // 00000000877C: D81A6A00 0000720A
	ds_write_b32 v10, v115 offset:28160                        // 000000008784: D81A6E00 0000730A
	v_add_f32_e32 v208, v208, v176                             // 00000000878C: 03A161D0
	v_add_f32_e32 v209, v209, v177                             // 000000008790: 03A363D1
	v_add_f32_e32 v210, v210, v178                             // 000000008794: 03A565D2
	v_add_f32_e32 v211, v211, v179                             // 000000008798: 03A767D3
	v_add_f32_e32 v212, v212, v180                             // 00000000879C: 03A969D4
	v_add_f32_e32 v213, v213, v181                             // 0000000087A0: 03AB6BD5
	v_add_f32_e32 v214, v214, v182                             // 0000000087A4: 03AD6DD6
	v_add_f32_e32 v215, v215, v183                             // 0000000087A8: 03AF6FD7
	v_rcp_f32_e32 v44, v48                                     // 0000000087AC: 7E584530
	s_waitcnt lgkmcnt(0)                                       // 0000000087B0: BF8CC07F
	s_barrier                                                  // 0000000087B4: BF8A0000
	ds_read_b64 v[112:113], v9 offset:25088                    // 0000000087B8: D8EC6200 70000009
	ds_read_b64 v[114:115], v9 offset:25216                    // 0000000087C0: D8EC6280 72000009
	ds_read_b64 v[116:117], v9 offset:26112                    // 0000000087C8: D8EC6600 74000009
	ds_read_b64 v[118:119], v9 offset:26240                    // 0000000087D0: D8EC6680 76000009
	ds_read_b64 v[120:121], v9 offset:27136                    // 0000000087D8: D8EC6A00 78000009
	ds_read_b64 v[122:123], v9 offset:27264                    // 0000000087E0: D8EC6A80 7A000009
	ds_read_b64 v[124:125], v9 offset:28160                    // 0000000087E8: D8EC6E00 7C000009
	ds_read_b64 v[126:127], v9 offset:28288                    // 0000000087F0: D8EC6E80 7E000009
	v_mov_b32_dpp v64, v43 row_shr:4 row_mask:0xf bank_mask:0xf// 0000000087F8: 7E8002FA FF01142B
	v_mov_b32_dpp v65, v43 row_shl:4 row_mask:0xf bank_mask:0xf// 000000008800: 7E8202FA FF01042B
	v_cndmask_b32_e64 v248, v43, v64, s[44:45]                 // 000000008808: D10000F8 00B2812B
	v_cndmask_b32_e64 v249, v65, v43, s[44:45]                 // 000000008810: D10000F9 00B25741
	v_mov_b32_dpp v64, v248 row_shr:8 row_mask:0xf bank_mask:0xf// 000000008818: 7E8002FA FF0118F8
	v_mov_b32_dpp v65, v248 row_shl:8 row_mask:0xf bank_mask:0xf// 000000008820: 7E8202FA FF0108F8
	v_mov_b32_dpp v66, v249 row_shr:8 row_mask:0xf bank_mask:0xf// 000000008828: 7E8402FA FF0118F9
	v_mov_b32_dpp v67, v249 row_shl:8 row_mask:0xf bank_mask:0xf// 000000008830: 7E8602FA FF0108F9
	v_mov_b32_e32 v68, v248                                    // 000000008838: 7E8803F8
	v_mov_b32_e32 v69, v249                                    // 00000000883C: 7E8A03F9
	v_cndmask_b32_e64 v248, v68, v64, s[42:43]                 // 000000008840: D10000F8 00AA8144
	v_cndmask_b32_e64 v250, v68, v65, s[78:79]                 // 000000008848: D10000FA 013A8344
	v_cndmask_b32_e64 v249, v69, v66, s[42:43]                 // 000000008850: D10000F9 00AA8545
	v_cndmask_b32_e64 v251, v69, v67, s[78:79]                 // 000000008858: D10000FB 013A8745
	v_mov_b32_dpp v64, v58 row_shr:4 row_mask:0xf bank_mask:0xf// 000000008860: 7E8002FA FF01143A
	v_mov_b32_dpp v65, v58 row_shl:4 row_mask:0xf bank_mask:0xf// 000000008868: 7E8202FA FF01043A
	v_cndmask_b32_e64 v252, v58, v64, s[44:45]                 // 000000008870: D10000FC 00B2813A
	v_cndmask_b32_e64 v253, v65, v58, s[44:45]                 // 000000008878: D10000FD 00B27541
	v_mov_b32_dpp v64, v252 row_shr:8 row_mask:0xf bank_mask:0xf// 000000008880: 7E8002FA FF0118FC
	v_mov_b32_dpp v65, v252 row_shl:8 row_mask:0xf bank_mask:0xf// 000000008888: 7E8202FA FF0108FC
	v_mov_b32_dpp v66, v253 row_shr:8 row_mask:0xf bank_mask:0xf// 000000008890: 7E8402FA FF0118FD
	v_mov_b32_dpp v67, v253 row_shl:8 row_mask:0xf bank_mask:0xf// 000000008898: 7E8602FA FF0108FD
	v_mov_b32_e32 v68, v252                                    // 0000000088A0: 7E8803FC
	v_mov_b32_e32 v69, v253                                    // 0000000088A4: 7E8A03FD
	v_cndmask_b32_e64 v252, v68, v64, s[42:43]                 // 0000000088A8: D10000FC 00AA8144
	v_cndmask_b32_e64 v254, v68, v65, s[78:79]                 // 0000000088B0: D10000FE 013A8344
	v_cndmask_b32_e64 v253, v69, v66, s[42:43]                 // 0000000088B8: D10000FD 00AA8545
	v_cndmask_b32_e64 v255, v69, v67, s[78:79]                 // 0000000088C0: D10000FF 013A8745
	v_mul_f32_e32 v128, v19, v128                              // 0000000088C8: 0B010113
	v_mul_f32_e32 v129, v19, v129                              // 0000000088CC: 0B030313
	v_mul_f32_e32 v130, v19, v130                              // 0000000088D0: 0B050513
	v_mul_f32_e32 v131, v19, v131                              // 0000000088D4: 0B070713
	v_mul_f32_e32 v132, v19, v132                              // 0000000088D8: 0B090913
	v_mul_f32_e32 v133, v19, v133                              // 0000000088DC: 0B0B0B13
	v_mul_f32_e32 v134, v19, v134                              // 0000000088E0: 0B0D0D13
	v_mul_f32_e32 v135, v19, v135                              // 0000000088E4: 0B0F0F13
	v_mul_f32_e32 v136, v19, v136                              // 0000000088E8: 0B111113
	v_mul_f32_e32 v137, v19, v137                              // 0000000088EC: 0B131313
	v_mul_f32_e32 v138, v19, v138                              // 0000000088F0: 0B151513
	v_mul_f32_e32 v139, v19, v139                              // 0000000088F4: 0B171713
	v_mul_f32_e32 v140, v19, v140                              // 0000000088F8: 0B191913
	v_mul_f32_e32 v141, v19, v141                              // 0000000088FC: 0B1B1B13
	v_mul_f32_e32 v142, v19, v142                              // 000000008900: 0B1D1D13
	v_mul_f32_e32 v143, v19, v143                              // 000000008904: 0B1F1F13
	v_mul_f32_dpp v128, v248, v128 quad_perm:[0,0,0,0] row_mask:0xf bank_mask:0xf// 000000008908: 0B0100FA FF0000F8
	v_mul_f32_dpp v129, v248, v129 quad_perm:[1,1,1,1] row_mask:0xf bank_mask:0xf// 000000008910: 0B0302FA FF0055F8
	v_mul_f32_dpp v130, v248, v130 quad_perm:[2,2,2,2] row_mask:0xf bank_mask:0xf// 000000008918: 0B0504FA FF00AAF8
	v_mul_f32_dpp v131, v248, v131 quad_perm:[3,3,3,3] row_mask:0xf bank_mask:0xf// 000000008920: 0B0706FA FF00FFF8
	v_mul_f32_dpp v132, v249, v132 quad_perm:[0,0,0,0] row_mask:0xf bank_mask:0xf// 000000008928: 0B0908FA FF0000F9
	v_mul_f32_dpp v133, v249, v133 quad_perm:[1,1,1,1] row_mask:0xf bank_mask:0xf// 000000008930: 0B0B0AFA FF0055F9
	v_mul_f32_dpp v134, v249, v134 quad_perm:[2,2,2,2] row_mask:0xf bank_mask:0xf// 000000008938: 0B0D0CFA FF00AAF9
	v_mul_f32_dpp v135, v249, v135 quad_perm:[3,3,3,3] row_mask:0xf bank_mask:0xf// 000000008940: 0B0F0EFA FF00FFF9
	v_mul_f32_dpp v136, v250, v136 quad_perm:[0,0,0,0] row_mask:0xf bank_mask:0xf// 000000008948: 0B1110FA FF0000FA
	v_mul_f32_dpp v137, v250, v137 quad_perm:[1,1,1,1] row_mask:0xf bank_mask:0xf// 000000008950: 0B1312FA FF0055FA
	v_mul_f32_dpp v138, v250, v138 quad_perm:[2,2,2,2] row_mask:0xf bank_mask:0xf// 000000008958: 0B1514FA FF00AAFA
	v_mul_f32_dpp v139, v250, v139 quad_perm:[3,3,3,3] row_mask:0xf bank_mask:0xf// 000000008960: 0B1716FA FF00FFFA
	v_mul_f32_dpp v140, v251, v140 quad_perm:[0,0,0,0] row_mask:0xf bank_mask:0xf// 000000008968: 0B1918FA FF0000FB
	v_mul_f32_dpp v141, v251, v141 quad_perm:[1,1,1,1] row_mask:0xf bank_mask:0xf// 000000008970: 0B1B1AFA FF0055FB
	v_mul_f32_dpp v142, v251, v142 quad_perm:[2,2,2,2] row_mask:0xf bank_mask:0xf// 000000008978: 0B1D1CFA FF00AAFB
	v_mul_f32_dpp v143, v251, v143 quad_perm:[3,3,3,3] row_mask:0xf bank_mask:0xf// 000000008980: 0B1F1EFA FF00FFFB
	v_mov_b32_e32 v48, v128                                    // 000000008988: 7E600380
	v_max3_f32 v48, v128, v129, v48                            // 00000000898C: D1D30030 04C30380
	v_max3_f32 v48, v130, v131, v48                            // 000000008994: D1D30030 04C30782
	v_max3_f32 v48, v132, v133, v48                            // 00000000899C: D1D30030 04C30B84
	v_max3_f32 v48, v134, v135, v48                            // 0000000089A4: D1D30030 04C30F86
	v_max3_f32 v48, v136, v137, v48                            // 0000000089AC: D1D30030 04C31388
	v_max3_f32 v48, v138, v139, v48                            // 0000000089B4: D1D30030 04C3178A
	v_max3_f32 v48, v140, v141, v48                            // 0000000089BC: D1D30030 04C31B8C
	v_max3_f32 v48, v142, v143, v48                            // 0000000089C4: D1D30030 04C31F8E
	ds_write_b32 v8, v48 offset:16896                          // 0000000089CC: D81A4200 00003008
	v_mul_f32_e32 v216, v50, v216                              // 0000000089D4: 0BB1B132
	v_mul_f32_e32 v217, v50, v217                              // 0000000089D8: 0BB3B332
	v_mul_f32_e32 v218, v50, v218                              // 0000000089DC: 0BB5B532
	v_mul_f32_e32 v219, v50, v219                              // 0000000089E0: 0BB7B732
	v_mul_f32_e32 v220, v50, v220                              // 0000000089E4: 0BB9B932
	v_mul_f32_e32 v221, v50, v221                              // 0000000089E8: 0BBBBB32
	v_mul_f32_e32 v222, v50, v222                              // 0000000089EC: 0BBDBD32
	v_mul_f32_e32 v223, v50, v223                              // 0000000089F0: 0BBFBF32
	s_waitcnt lgkmcnt(0)                                       // 0000000089F4: BF8CC07F
	s_barrier                                                  // 0000000089F8: BF8A0000
	ds_read_b32 v64, v7 offset:16896                           // 0000000089FC: D86C4200 40000007
	ds_read_b32 v65, v7 offset:16960                           // 000000008A04: D86C4240 41000007
	ds_read_b32 v66, v7 offset:17024                           // 000000008A0C: D86C4280 42000007
	ds_read_b32 v67, v7 offset:17088                           // 000000008A14: D86C42C0 43000007
	ds_read_b32 v68, v7 offset:17152                           // 000000008A1C: D86C4300 44000007
	ds_read_b32 v69, v7 offset:17216                           // 000000008A24: D86C4340 45000007
	ds_read_b32 v70, v7 offset:17280                           // 000000008A2C: D86C4380 46000007
	ds_read_b32 v71, v7 offset:17344                           // 000000008A34: D86C43C0 47000007
	ds_read_b32 v72, v7 offset:17408                           // 000000008A3C: D86C4400 48000007
	ds_read_b32 v73, v7 offset:17472                           // 000000008A44: D86C4440 49000007
	ds_read_b32 v74, v7 offset:17536                           // 000000008A4C: D86C4480 4A000007
	ds_read_b32 v75, v7 offset:17600                           // 000000008A54: D86C44C0 4B000007
	ds_read_b32 v76, v7 offset:17664                           // 000000008A5C: D86C4500 4C000007
	ds_read_b32 v77, v7 offset:17728                           // 000000008A64: D86C4540 4D000007
	ds_read_b32 v78, v7 offset:17792                           // 000000008A6C: D86C4580 4E000007
	ds_read_b32 v79, v7 offset:17856                           // 000000008A74: D86C45C0 4F000007
	v_mul_f32_e32 v184, v45, v184                              // 000000008A7C: 0B71712D
	v_mul_f32_e32 v185, v45, v185                              // 000000008A80: 0B73732D
	v_mul_f32_e32 v186, v45, v186                              // 000000008A84: 0B75752D
	v_mul_f32_e32 v187, v45, v187                              // 000000008A88: 0B77772D
	v_mul_f32_e32 v188, v45, v188                              // 000000008A8C: 0B79792D
	v_mul_f32_e32 v189, v45, v189                              // 000000008A90: 0B7B7B2D
	v_mul_f32_e32 v190, v45, v190                              // 000000008A94: 0B7D7D2D
	v_mul_f32_e32 v191, v45, v191                              // 000000008A98: 0B7F7F2D
	s_waitcnt lgkmcnt(0)                                       // 000000008A9C: BF8CC07F
	v_max3_f32 v48, v64, v65, v48                              // 000000008AA0: D1D30030 04C28340
	v_max3_f32 v48, v66, v67, v48                              // 000000008AA8: D1D30030 04C28742
	v_max3_f32 v48, v68, v69, v48                              // 000000008AB0: D1D30030 04C28B44
	v_max3_f32 v48, v70, v71, v48                              // 000000008AB8: D1D30030 04C28F46
	v_max3_f32 v48, v72, v73, v48                              // 000000008AC0: D1D30030 04C29348
	v_max3_f32 v48, v74, v75, v48                              // 000000008AC8: D1D30030 04C2974A
	v_max3_f32 v48, v76, v77, v48                              // 000000008AD0: D1D30030 04C29B4C
	v_max3_f32 v48, v78, v79, v48                              // 000000008AD8: D1D30030 04C29F4E
	v_mov_b32_e32 v64, 0xff800000                              // 000000008AE0: 7E8002FF FF800000
	v_cmp_eq_u32_e64 s[40:41], v64, v12                        // 000000008AE8: D0CA0028 00021940
	s_nop 1                                                    // 000000008AF0: BF800001
	v_max_f32_e32 v15, v48, v12                                // 000000008AF4: 161E1930
	v_mul_f32_e32 v53, s64, v15                                // 000000008AF8: 0A6A1E40
	v_fma_f32 v128, v128, s64, -v53                            // 000000008AFC: D1CB0080 84D48180
	v_fma_f32 v129, v129, s64, -v53                            // 000000008B04: D1CB0081 84D48181
	v_fma_f32 v130, v130, s64, -v53                            // 000000008B0C: D1CB0082 84D48182
	v_fma_f32 v131, v131, s64, -v53                            // 000000008B14: D1CB0083 84D48183
	v_fma_f32 v132, v132, s64, -v53                            // 000000008B1C: D1CB0084 84D48184
	v_fma_f32 v133, v133, s64, -v53                            // 000000008B24: D1CB0085 84D48185
	v_fma_f32 v134, v134, s64, -v53                            // 000000008B2C: D1CB0086 84D48186
	v_fma_f32 v135, v135, s64, -v53                            // 000000008B34: D1CB0087 84D48187
	v_fma_f32 v136, v136, s64, -v53                            // 000000008B3C: D1CB0088 84D48188
	v_fma_f32 v137, v137, s64, -v53                            // 000000008B44: D1CB0089 84D48189
	v_fma_f32 v138, v138, s64, -v53                            // 000000008B4C: D1CB008A 84D4818A
	v_fma_f32 v139, v139, s64, -v53                            // 000000008B54: D1CB008B 84D4818B
	v_fma_f32 v140, v140, s64, -v53                            // 000000008B5C: D1CB008C 84D4818C
	v_fma_f32 v141, v141, s64, -v53                            // 000000008B64: D1CB008D 84D4818D
	v_fma_f32 v142, v142, s64, -v53                            // 000000008B6C: D1CB008E 84D4818E
	v_fma_f32 v143, v143, s64, -v53                            // 000000008B74: D1CB008F 84D4818F
	v_exp_f32_e32 v128, v128                                   // 000000008B7C: 7F004180
	v_exp_f32_e32 v129, v129                                   // 000000008B80: 7F024181
	v_exp_f32_e32 v130, v130                                   // 000000008B84: 7F044182
	v_exp_f32_e32 v131, v131                                   // 000000008B88: 7F064183
	v_exp_f32_e32 v132, v132                                   // 000000008B8C: 7F084184
	v_exp_f32_e32 v133, v133                                   // 000000008B90: 7F0A4185
	v_exp_f32_e32 v134, v134                                   // 000000008B94: 7F0C4186
	v_exp_f32_e32 v135, v135                                   // 000000008B98: 7F0E4187
	v_exp_f32_e32 v136, v136                                   // 000000008B9C: 7F104188
	v_exp_f32_e32 v137, v137                                   // 000000008BA0: 7F124189
	v_exp_f32_e32 v138, v138                                   // 000000008BA4: 7F14418A
	v_exp_f32_e32 v139, v139                                   // 000000008BA8: 7F16418B
	v_exp_f32_e32 v140, v140                                   // 000000008BAC: 7F18418C
	v_exp_f32_e32 v141, v141                                   // 000000008BB0: 7F1A418D
	v_exp_f32_e32 v142, v142                                   // 000000008BB4: 7F1C418E
	v_exp_f32_e32 v143, v143                                   // 000000008BB8: 7F1E418F
	v_mul_f32_dpp v240, v252, v128 quad_perm:[0,0,0,0] row_mask:0xf bank_mask:0xf// 000000008BBC: 0BE100FA FF0000FC
	v_mul_f32_dpp v241, v252, v129 quad_perm:[1,1,1,1] row_mask:0xf bank_mask:0xf// 000000008BC4: 0BE302FA FF0055FC
	v_mul_f32_dpp v242, v252, v130 quad_perm:[2,2,2,2] row_mask:0xf bank_mask:0xf// 000000008BCC: 0BE504FA FF00AAFC
	v_mul_f32_dpp v243, v252, v131 quad_perm:[3,3,3,3] row_mask:0xf bank_mask:0xf// 000000008BD4: 0BE706FA FF00FFFC
	v_mul_f32_dpp v244, v253, v132 quad_perm:[0,0,0,0] row_mask:0xf bank_mask:0xf// 000000008BDC: 0BE908FA FF0000FD
	v_mul_f32_dpp v245, v253, v133 quad_perm:[1,1,1,1] row_mask:0xf bank_mask:0xf// 000000008BE4: 0BEB0AFA FF0055FD
	v_mul_f32_dpp v246, v253, v134 quad_perm:[2,2,2,2] row_mask:0xf bank_mask:0xf// 000000008BEC: 0BED0CFA FF00AAFD
	v_mul_f32_dpp v247, v253, v135 quad_perm:[3,3,3,3] row_mask:0xf bank_mask:0xf// 000000008BF4: 0BEF0EFA FF00FFFD
	v_mul_f32_dpp v248, v254, v136 quad_perm:[0,0,0,0] row_mask:0xf bank_mask:0xf// 000000008BFC: 0BF110FA FF0000FE
	v_mul_f32_dpp v249, v254, v137 quad_perm:[1,1,1,1] row_mask:0xf bank_mask:0xf// 000000008C04: 0BF312FA FF0055FE
	v_mul_f32_dpp v250, v254, v138 quad_perm:[2,2,2,2] row_mask:0xf bank_mask:0xf// 000000008C0C: 0BF514FA FF00AAFE
	v_mul_f32_dpp v251, v254, v139 quad_perm:[3,3,3,3] row_mask:0xf bank_mask:0xf// 000000008C14: 0BF716FA FF00FFFE
	v_mul_f32_dpp v252, v255, v140 quad_perm:[0,0,0,0] row_mask:0xf bank_mask:0xf// 000000008C1C: 0BF918FA FF0000FF
	v_mul_f32_dpp v253, v255, v141 quad_perm:[1,1,1,1] row_mask:0xf bank_mask:0xf// 000000008C24: 0BFB1AFA FF0055FF
	v_mul_f32_dpp v254, v255, v142 quad_perm:[2,2,2,2] row_mask:0xf bank_mask:0xf// 000000008C2C: 0BFD1CFA FF00AAFF
	v_mul_f32_dpp v255, v255, v143 quad_perm:[3,3,3,3] row_mask:0xf bank_mask:0xf// 000000008C34: 0BFF1EFA FF00FFFF
	v_mov_b32_e32 v48, 0x358637bd                              // 000000008C3C: 7E6002FF 358637BD
	v_max3_f32 v48, |v240|, |v241|, v48                        // 000000008C44: D1D30330 04C3E3F0
	v_max3_f32 v48, |v242|, |v243|, v48                        // 000000008C4C: D1D30330 04C3E7F2
	v_max3_f32 v48, |v244|, |v245|, v48                        // 000000008C54: D1D30330 04C3EBF4
	v_max3_f32 v48, |v246|, |v247|, v48                        // 000000008C5C: D1D30330 04C3EFF6
	v_max3_f32 v48, |v248|, |v249|, v48                        // 000000008C64: D1D30330 04C3F3F8
	v_max3_f32 v48, |v250|, |v251|, v48                        // 000000008C6C: D1D30330 04C3F7FA
	v_max3_f32 v48, |v252|, |v253|, v48                        // 000000008C74: D1D30330 04C3FBFC
	v_max3_f32 v48, |v254|, |v255|, v48                        // 000000008C7C: D1D30330 04C3FFFE
	ds_write_b32 v8, v48 offset:20992                          // 000000008C84: D81A5200 00003008
	v_sub_f32_e32 v50, v12, v15                                // 000000008C8C: 04641F0C
	v_cndmask_b32_e64 v50, v50, 0, s[40:41]                    // 000000008C90: D1000032 00A10132
	v_mov_b32_e32 v12, v15                                     // 000000008C98: 7E18030F
	v_mul_f32_e32 v50, s64, v50                                // 000000008C9C: 0A646440
	v_exp_f32_e32 v50, v50                                     // 000000008CA0: 7E644132
	s_waitcnt lgkmcnt(0)                                       // 000000008CA4: BF8CC07F
	s_barrier                                                  // 000000008CA8: BF8A0000
	ds_read_b32 v64, v7 offset:20992                           // 000000008CAC: D86C5200 40000007
	ds_read_b32 v65, v7 offset:21056                           // 000000008CB4: D86C5240 41000007
	ds_read_b32 v66, v7 offset:21120                           // 000000008CBC: D86C5280 42000007
	ds_read_b32 v67, v7 offset:21184                           // 000000008CC4: D86C52C0 43000007
	ds_read_b32 v68, v7 offset:21248                           // 000000008CCC: D86C5300 44000007
	ds_read_b32 v69, v7 offset:21312                           // 000000008CD4: D86C5340 45000007
	ds_read_b32 v70, v7 offset:21376                           // 000000008CDC: D86C5380 46000007
	ds_read_b32 v71, v7 offset:21440                           // 000000008CE4: D86C53C0 47000007
	ds_read_b32 v72, v7 offset:21504                           // 000000008CEC: D86C5400 48000007
	ds_read_b32 v73, v7 offset:21568                           // 000000008CF4: D86C5440 49000007
	ds_read_b32 v74, v7 offset:21632                           // 000000008CFC: D86C5480 4A000007
	ds_read_b32 v75, v7 offset:21696                           // 000000008D04: D86C54C0 4B000007
	ds_read_b32 v76, v7 offset:21760                           // 000000008D0C: D86C5500 4C000007
	ds_read_b32 v77, v7 offset:21824                           // 000000008D14: D86C5540 4D000007
	ds_read_b32 v78, v7 offset:21888                           // 000000008D1C: D86C5580 4E000007
	ds_read_b32 v79, v7 offset:21952                           // 000000008D24: D86C55C0 4F000007
	v_mul_f32_e32 v39, v50, v39                                // 000000008D2C: 0A4E4F32
	v_mov_b32_e32 v15, v128                                    // 000000008D30: 7E1E0380
	v_add_f32_e32 v15, v129, v15                               // 000000008D34: 021E1F81
	v_add_f32_e32 v15, v130, v15                               // 000000008D38: 021E1F82
	v_add_f32_e32 v15, v131, v15                               // 000000008D3C: 021E1F83
	v_add_f32_e32 v15, v132, v15                               // 000000008D40: 021E1F84
	v_add_f32_e32 v15, v133, v15                               // 000000008D44: 021E1F85
	v_add_f32_e32 v15, v134, v15                               // 000000008D48: 021E1F86
	v_add_f32_e32 v15, v135, v15                               // 000000008D4C: 021E1F87
	v_add_f32_e32 v15, v136, v15                               // 000000008D50: 021E1F88
	v_add_f32_e32 v15, v137, v15                               // 000000008D54: 021E1F89
	v_add_f32_e32 v15, v138, v15                               // 000000008D58: 021E1F8A
	v_add_f32_e32 v15, v139, v15                               // 000000008D5C: 021E1F8B
	v_add_f32_e32 v15, v140, v15                               // 000000008D60: 021E1F8C
	v_add_f32_e32 v15, v141, v15                               // 000000008D64: 021E1F8D
	v_add_f32_e32 v15, v142, v15                               // 000000008D68: 021E1F8E
	v_add_f32_e32 v15, v143, v15                               // 000000008D6C: 021E1F8F
	v_add_f32_e32 v39, v15, v39                                // 000000008D70: 024E4F0F
	s_waitcnt lgkmcnt(0)                                       // 000000008D74: BF8CC07F
	v_max3_f32 v48, |v64|, |v65|, v48                          // 000000008D78: D1D30330 04C28340
	v_max3_f32 v48, |v66|, |v67|, v48                          // 000000008D80: D1D30330 04C28742
	v_max3_f32 v48, |v68|, |v69|, v48                          // 000000008D88: D1D30330 04C28B44
	v_max3_f32 v48, |v70|, |v71|, v48                          // 000000008D90: D1D30330 04C28F46
	v_max3_f32 v48, |v72|, |v73|, v48                          // 000000008D98: D1D30330 04C29348
	v_max3_f32 v48, |v74|, |v75|, v48                          // 000000008DA0: D1D30330 04C2974A
	v_max3_f32 v48, |v76|, |v77|, v48                          // 000000008DA8: D1D30330 04C29B4C
	v_max3_f32 v48, |v78|, |v79|, v48                          // 000000008DB0: D1D30330 04C29F4E
	s_nop 2                                                    // 000000008DB8: BF800002
	v_rcp_f32_e32 v48, v48                                     // 000000008DBC: 7E604530
	s_nop 1                                                    // 000000008DC0: BF800001
	v_mul_f32_e32 v48, 0x43e00000, v48                         // 000000008DC4: 0A6060FF 43E00000
	v_mul_f32_e32 v128, v48, v240                              // 000000008DCC: 0B01E130
	v_mul_f32_e32 v129, v48, v241                              // 000000008DD0: 0B03E330
	v_mul_f32_e32 v130, v48, v242                              // 000000008DD4: 0B05E530
	v_mul_f32_e32 v131, v48, v243                              // 000000008DD8: 0B07E730
	v_mul_f32_e32 v132, v48, v244                              // 000000008DDC: 0B09E930
	v_mul_f32_e32 v133, v48, v245                              // 000000008DE0: 0B0BEB30
	v_mul_f32_e32 v134, v48, v246                              // 000000008DE4: 0B0DED30
	v_mul_f32_e32 v135, v48, v247                              // 000000008DE8: 0B0FEF30
	v_mul_f32_e32 v136, v48, v248                              // 000000008DEC: 0B11F130
	v_mul_f32_e32 v137, v48, v249                              // 000000008DF0: 0B13F330
	v_mul_f32_e32 v138, v48, v250                              // 000000008DF4: 0B15F530
	v_mul_f32_e32 v139, v48, v251                              // 000000008DF8: 0B17F730
	v_mul_f32_e32 v140, v48, v252                              // 000000008DFC: 0B19F930
	v_mul_f32_e32 v141, v48, v253                              // 000000008E00: 0B1BFB30
	v_mul_f32_e32 v142, v48, v254                              // 000000008E04: 0B1DFD30
	v_mul_f32_e32 v143, v48, v255                              // 000000008E08: 0B1FFF30
	v_cvt_pk_fp8_f32 v128, v128, v129                          // 000000008E0C: D2A20080 00030380
	v_cvt_pk_fp8_f32 v128, v130, v131 op_sel:[0,0,1]           // 000000008E14: D2A24080 00030782
	v_cvt_pk_fp8_f32 v129, v132, v133                          // 000000008E1C: D2A20081 00030B84
	v_cvt_pk_fp8_f32 v129, v134, v135 op_sel:[0,0,1]           // 000000008E24: D2A24081 00030F86
	v_cvt_pk_fp8_f32 v130, v136, v137                          // 000000008E2C: D2A20082 00031388
	v_cvt_pk_fp8_f32 v130, v138, v139 op_sel:[0,0,1]           // 000000008E34: D2A24082 0003178A
	v_cvt_pk_fp8_f32 v131, v140, v141                          // 000000008E3C: D2A20083 00031B8C
	v_cvt_pk_fp8_f32 v131, v142, v143 op_sel:[0,0,1]           // 000000008E44: D2A24083 00031F8E
	ds_write_b32 v10, v128 offset:29184                        // 000000008E4C: D81A7200 0000800A
	ds_write_b32 v10, v129 offset:30208                        // 000000008E54: D81A7600 0000810A
	ds_write_b32 v10, v130 offset:31232                        // 000000008E5C: D81A7A00 0000820A
	ds_write_b32 v10, v131 offset:32256                        // 000000008E64: D81A7E00 0000830A
	v_add_f32_e32 v216, v216, v184                             // 000000008E6C: 03B171D8
	v_add_f32_e32 v217, v217, v185                             // 000000008E70: 03B373D9
	v_add_f32_e32 v218, v218, v186                             // 000000008E74: 03B575DA
	v_add_f32_e32 v219, v219, v187                             // 000000008E78: 03B777DB
	v_add_f32_e32 v220, v220, v188                             // 000000008E7C: 03B979DC
	v_add_f32_e32 v221, v221, v189                             // 000000008E80: 03BB7BDD
	v_add_f32_e32 v222, v222, v190                             // 000000008E84: 03BD7DDE
	v_add_f32_e32 v223, v223, v191                             // 000000008E88: 03BF7FDF
	v_rcp_f32_e32 v45, v48                                     // 000000008E8C: 7E5A4530
	s_waitcnt lgkmcnt(0)                                       // 000000008E90: BF8CC07F
	s_barrier                                                  // 000000008E94: BF8A0000
	ds_read_b64 v[128:129], v9 offset:29184                    // 000000008E98: D8EC7200 80000009
	ds_read_b64 v[130:131], v9 offset:29312                    // 000000008EA0: D8EC7280 82000009
	ds_read_b64 v[132:133], v9 offset:30208                    // 000000008EA8: D8EC7600 84000009
	ds_read_b64 v[134:135], v9 offset:30336                    // 000000008EB0: D8EC7680 86000009
	ds_read_b64 v[136:137], v9 offset:31232                    // 000000008EB8: D8EC7A00 88000009
	ds_read_b64 v[138:139], v9 offset:31360                    // 000000008EC0: D8EC7A80 8A000009
	ds_read_b64 v[140:141], v9 offset:32256                    // 000000008EC8: D8EC7E00 8C000009
	ds_read_b64 v[142:143], v9 offset:32384                    // 000000008ED0: D8EC7E80 8E000009
	s_waitcnt vmcnt(15)                                        // 000000008ED8: BF8C0F7F
	v_mfma_f32_16x16x32_fp8_fp8 v[176:179], a[96:97], v[112:113], 0// 000000008EDC: D3F300B0 0A02E160
	v_mfma_f32_16x16x32_fp8_fp8 v[176:179], a[98:99], v[114:115], v[176:179]// 000000008EE4: D3F300B0 0EC2E562
	buffer_load_dwordx4 a[80:83], v30, s[20:23], 0 offen offset:1024// 000000008EEC: E05C1400 8085501E
	v_mfma_f32_16x16x32_fp8_fp8 v[176:179], a[100:101], v[116:117], v[176:179]// 000000008EF4: D3F300B0 0EC2E964
	v_mfma_f32_16x16x32_fp8_fp8 v[176:179], a[102:103], v[118:119], v[176:179]// 000000008EFC: D3F300B0 0EC2ED66
	v_mfma_f32_16x16x32_fp8_fp8 v[176:179], a[104:105], v[120:121], v[176:179]// 000000008F04: D3F300B0 0EC2F168
	v_mfma_f32_16x16x32_fp8_fp8 v[176:179], a[106:107], v[122:123], v[176:179]// 000000008F0C: D3F300B0 0EC2F56A
	buffer_load_dwordx4 a[84:87], v31, s[20:23], 0 offen offset:1024// 000000008F14: E05C1400 8085541F
	v_mfma_f32_16x16x32_fp8_fp8 v[176:179], a[108:109], v[124:125], v[176:179]// 000000008F1C: D3F300B0 0EC2F96C
	v_mfma_f32_16x16x32_fp8_fp8 v[176:179], a[110:111], v[126:127], v[176:179]// 000000008F24: D3F300B0 0EC2FD6E
	v_mfma_f32_16x16x32_fp8_fp8 v[180:183], a[112:113], v[112:113], 0// 000000008F2C: D3F300B4 0A02E170
	v_mfma_f32_16x16x32_fp8_fp8 v[180:183], a[114:115], v[114:115], v[180:183]// 000000008F34: D3F300B4 0ED2E572
	buffer_load_dwordx4 a[88:91], v32, s[20:23], 0 offen offset:1024// 000000008F3C: E05C1400 80855820
	v_mfma_f32_16x16x32_fp8_fp8 v[180:183], a[116:117], v[116:117], v[180:183]// 000000008F44: D3F300B4 0ED2E974
	v_mfma_f32_16x16x32_fp8_fp8 v[180:183], a[118:119], v[118:119], v[180:183]// 000000008F4C: D3F300B4 0ED2ED76
	v_mfma_f32_16x16x32_fp8_fp8 v[180:183], a[120:121], v[120:121], v[180:183]// 000000008F54: D3F300B4 0ED2F178
	v_mfma_f32_16x16x32_fp8_fp8 v[180:183], a[122:123], v[122:123], v[180:183]// 000000008F5C: D3F300B4 0ED2F57A
	buffer_load_dwordx4 a[92:95], v33, s[20:23], 0 offen offset:1024// 000000008F64: E05C1400 80855C21
	v_mfma_f32_16x16x32_fp8_fp8 v[180:183], a[124:125], v[124:125], v[180:183]// 000000008F6C: D3F300B4 0ED2F97C
	s_lshr_b32 s57, s70, 4                                     // 000000008F74: 8F398446
	s_add_u32 s57, 48, s57                                     // 000000008F78: 803939B0
	v_mfma_f32_16x16x32_fp8_fp8 v[180:183], a[126:127], v[126:127], v[180:183]// 000000008F7C: D3F300B4 0ED2FD7E
	s_cmp_ge_u32 s57, s73                                      // 000000008F84: BF094939
	s_cselect_b32 s56, 0, s56                                  // 000000008F88: 85383880
	v_mfma_f32_16x16x32_fp8_fp8 v[184:187], a[96:97], v[128:129], 0// 000000008F8C: D3F300B8 0A030160
	v_mfma_f32_16x16x32_fp8_fp8 v[184:187], a[98:99], v[130:131], v[184:187]// 000000008F94: D3F300B8 0EE30562
	v_mfma_f32_16x16x32_fp8_fp8 v[184:187], a[100:101], v[132:133], v[184:187]// 000000008F9C: D3F300B8 0EE30964
	v_mfma_f32_16x16x32_fp8_fp8 v[184:187], a[102:103], v[134:135], v[184:187]// 000000008FA4: D3F300B8 0EE30D66
	v_mfma_f32_16x16x32_fp8_fp8 v[184:187], a[104:105], v[136:137], v[184:187]// 000000008FAC: D3F300B8 0EE31168
	v_mfma_f32_16x16x32_fp8_fp8 v[184:187], a[106:107], v[138:139], v[184:187]// 000000008FB4: D3F300B8 0EE3156A
	v_mfma_f32_16x16x32_fp8_fp8 v[184:187], a[108:109], v[140:141], v[184:187]// 000000008FBC: D3F300B8 0EE3196C
	v_mfma_f32_16x16x32_fp8_fp8 v[184:187], a[110:111], v[142:143], v[184:187]// 000000008FC4: D3F300B8 0EE31D6E
	v_mfma_f32_16x16x32_fp8_fp8 v[188:191], a[112:113], v[128:129], 0// 000000008FCC: D3F300BC 0A030170
	v_mfma_f32_16x16x32_fp8_fp8 v[188:191], a[114:115], v[130:131], v[188:191]// 000000008FD4: D3F300BC 0EF30572
	v_mfma_f32_16x16x32_fp8_fp8 v[188:191], a[116:117], v[132:133], v[188:191]// 000000008FDC: D3F300BC 0EF30974
	v_mfma_f32_16x16x32_fp8_fp8 v[188:191], a[118:119], v[134:135], v[188:191]// 000000008FE4: D3F300BC 0EF30D76
	v_mfma_f32_16x16x32_fp8_fp8 v[188:191], a[120:121], v[136:137], v[188:191]// 000000008FEC: D3F300BC 0EF31178
	v_mfma_f32_16x16x32_fp8_fp8 v[188:191], a[122:123], v[138:139], v[188:191]// 000000008FF4: D3F300BC 0EF3157A
	v_mfma_f32_16x16x32_fp8_fp8 v[188:191], a[124:125], v[140:141], v[188:191]// 000000008FFC: D3F300BC 0EF3197C
	v_mfma_f32_16x16x32_fp8_fp8 v[188:191], a[126:127], v[142:143], v[188:191]// 000000009004: D3F300BC 0EF31D7E
	v_add_u32_e32 v1, s56, v1                                  // 00000000900C: 68020238
	s_addk_i32 s70, 0x100                                      // 000000009010: B7460100
	s_cmp_lt_i32 s70, s71                                      // 000000009014: BF044746
	s_cbranch_scc0 label_1B88                                  // 000000009018: BF840001
	s_branch label_130B                                        // 00000000901C: BF82F783

0000000000009020 <label_1B88>:
	s_nop 0                                                    // 000000009020: BF800000
	s_nop 0                                                    // 000000009024: BF800000
	s_branch label_2408                                        // 000000009028: BF82087D

000000000000902c <label_1B8B>:
	s_waitcnt vmcnt(8) lgkmcnt(0)                              // 00000000902C: BF8C0078
	v_mul_u32_u24_dpp v64, v17, v54 row_newbcast:0 row_mask:0xf bank_mask:0xf// 000000009030: 10806CFA FF015011
	v_mul_u32_u24_dpp v65, v17, v54 row_newbcast:4 row_mask:0xf bank_mask:0xf// 000000009038: 10826CFA FF015411
	v_mul_u32_u24_dpp v66, v17, v54 row_newbcast:8 row_mask:0xf bank_mask:0xf// 000000009040: 10846CFA FF015811
	v_mul_u32_u24_dpp v67, v17, v54 row_newbcast:12 row_mask:0xf bank_mask:0xf// 000000009048: 10866CFA FF015C11
	v_add_u32_e32 v26, v64, v5                                 // 000000009050: 68340B40
	v_add_u32_e32 v27, v65, v5                                 // 000000009054: 68360B41
	v_add_u32_e32 v28, v66, v5                                 // 000000009058: 68380B42
	v_add_u32_e32 v29, v67, v5                                 // 00000000905C: 683A0B43
	v_mul_u32_u24_dpp v64, v17, v63 quad_perm:[0,0,0,0] row_mask:0xf bank_mask:0xf// 000000009060: 10807EFA FF000011
	v_add_u32_e32 v3, v64, v59                                 // 000000009068: 68067740
	v_mul_u32_u24_dpp v64, v17, v63 quad_perm:[0,0,0,0] row_mask:0xf bank_mask:0xf// 00000000906C: 10807EFA FF000011
	v_add_u32_e32 v56, v64, v60                                // 000000009074: 68707940
	v_mfma_f32_16x16x32_fp8_fp8 v[112:115], a[0:1], v[80:81], 0// 000000009078: D3F30070 0A02A100
	buffer_load_dwordx4 a[32:35], v26, s[16:19], 0 offen       // 000000009080: E05C1000 8084201A
	v_mfma_f32_16x16x32_fp8_fp8 v[112:115], a[2:3], v[82:83], v[112:115]// 000000009088: D3F30070 0DC2A502
	v_mfma_f32_16x16x32_fp8_fp8 v[112:115], a[4:5], v[84:85], v[112:115]// 000000009090: D3F30070 0DC2A904
	buffer_load_dword v16, v1, s[24:27], 0 offen               // 000000009098: E0501000 80061001
	v_mfma_f32_16x16x32_fp8_fp8 v[112:115], a[6:7], v[86:87], v[112:115]// 0000000090A0: D3F30070 0DC2AD06
	v_mfma_f32_16x16x32_fp8_fp8 v[116:119], a[8:9], v[80:81], 0// 0000000090A8: D3F30074 0A02A108
	buffer_load_dwordx4 a[36:39], v26, s[16:19], 0 offen offset:1024// 0000000090B0: E05C1400 8084241A
	v_mfma_f32_16x16x32_fp8_fp8 v[116:119], a[10:11], v[82:83], v[116:119]// 0000000090B8: D3F30074 0DD2A50A
	v_mfma_f32_16x16x32_fp8_fp8 v[116:119], a[12:13], v[84:85], v[116:119]// 0000000090C0: D3F30074 0DD2A90C
	v_mfma_f32_16x16x32_fp8_fp8 v[116:119], a[14:15], v[86:87], v[116:119]// 0000000090C8: D3F30074 0DD2AD0E
	v_mfma_f32_16x16x32_fp8_fp8 v[120:123], a[16:17], v[80:81], 0// 0000000090D0: D3F30078 0A02A110
	buffer_load_dwordx4 a[40:43], v27, s[16:19], 0 offen       // 0000000090D8: E05C1000 8084281B
	v_mfma_f32_16x16x32_fp8_fp8 v[120:123], a[18:19], v[82:83], v[120:123]// 0000000090E0: D3F30078 0DE2A512
	v_mfma_f32_16x16x32_fp8_fp8 v[120:123], a[20:21], v[84:85], v[120:123]// 0000000090E8: D3F30078 0DE2A914
	v_mfma_f32_16x16x32_fp8_fp8 v[120:123], a[22:23], v[86:87], v[120:123]// 0000000090F0: D3F30078 0DE2AD16
	v_mfma_f32_16x16x32_fp8_fp8 v[124:127], a[24:25], v[80:81], 0// 0000000090F8: D3F3007C 0A02A118
	buffer_load_dwordx4 a[44:47], v27, s[16:19], 0 offen offset:1024// 000000009100: E05C1400 80842C1B
	v_mfma_f32_16x16x32_fp8_fp8 v[124:127], a[26:27], v[82:83], v[124:127]// 000000009108: D3F3007C 0DF2A51A
	v_mfma_f32_16x16x32_fp8_fp8 v[124:127], a[28:29], v[84:85], v[124:127]// 000000009110: D3F3007C 0DF2A91C
	v_mfma_f32_16x16x32_fp8_fp8 v[124:127], a[30:31], v[86:87], v[124:127]// 000000009118: D3F3007C 0DF2AD1E
	v_mfma_f32_16x16x32_fp8_fp8 v[128:131], a[0:1], v[88:89], 0// 000000009120: D3F30080 0A02B100
	v_mfma_f32_16x16x32_fp8_fp8 v[128:131], a[2:3], v[90:91], v[128:131]// 000000009128: D3F30080 0E02B502
	v_mfma_f32_16x16x32_fp8_fp8 v[128:131], a[4:5], v[92:93], v[128:131]// 000000009130: D3F30080 0E02B904
	v_mfma_f32_16x16x32_fp8_fp8 v[128:131], a[6:7], v[94:95], v[128:131]// 000000009138: D3F30080 0E02BD06
	v_mfma_f32_16x16x32_fp8_fp8 v[132:135], a[8:9], v[88:89], 0// 000000009140: D3F30084 0A02B108
	v_mfma_f32_16x16x32_fp8_fp8 v[132:135], a[10:11], v[90:91], v[132:135]// 000000009148: D3F30084 0E12B50A
	v_mfma_f32_16x16x32_fp8_fp8 v[132:135], a[12:13], v[92:93], v[132:135]// 000000009150: D3F30084 0E12B90C
	v_mfma_f32_16x16x32_fp8_fp8 v[132:135], a[14:15], v[94:95], v[132:135]// 000000009158: D3F30084 0E12BD0E
	v_mfma_f32_16x16x32_fp8_fp8 v[136:139], a[16:17], v[88:89], 0// 000000009160: D3F30088 0A02B110
	v_mfma_f32_16x16x32_fp8_fp8 v[136:139], a[18:19], v[90:91], v[136:139]// 000000009168: D3F30088 0E22B512
	v_mfma_f32_16x16x32_fp8_fp8 v[136:139], a[20:21], v[92:93], v[136:139]// 000000009170: D3F30088 0E22B914
	v_mfma_f32_16x16x32_fp8_fp8 v[136:139], a[22:23], v[94:95], v[136:139]// 000000009178: D3F30088 0E22BD16
	v_mfma_f32_16x16x32_fp8_fp8 v[140:143], a[24:25], v[88:89], 0// 000000009180: D3F3008C 0A02B118
	v_mfma_f32_16x16x32_fp8_fp8 v[140:143], a[26:27], v[90:91], v[140:143]// 000000009188: D3F3008C 0E32B51A
	v_mfma_f32_16x16x32_fp8_fp8 v[140:143], a[28:29], v[92:93], v[140:143]// 000000009190: D3F3008C 0E32B91C
	v_mfma_f32_16x16x32_fp8_fp8 v[140:143], a[30:31], v[94:95], v[140:143]// 000000009198: D3F3008C 0E32BD1E
	buffer_load_dword v43, v3, s[32:35], 0 offen               // 0000000091A0: E0501000 80082B03
	v_mov_b32_dpp v64, v42 row_shr:4 row_mask:0xf bank_mask:0xf// 0000000091A8: 7E8002FA FF01142A
	v_mov_b32_dpp v65, v42 row_shl:4 row_mask:0xf bank_mask:0xf// 0000000091B0: 7E8202FA FF01042A
	v_cndmask_b32_e64 v248, v42, v64, s[44:45]                 // 0000000091B8: D10000F8 00B2812A
	v_cndmask_b32_e64 v249, v65, v42, s[44:45]                 // 0000000091C0: D10000F9 00B25541
	v_mov_b32_dpp v64, v248 row_shr:8 row_mask:0xf bank_mask:0xf// 0000000091C8: 7E8002FA FF0118F8
	v_mov_b32_dpp v65, v248 row_shl:8 row_mask:0xf bank_mask:0xf// 0000000091D0: 7E8202FA FF0108F8
	v_mov_b32_dpp v66, v249 row_shr:8 row_mask:0xf bank_mask:0xf// 0000000091D8: 7E8402FA FF0118F9
	v_mov_b32_dpp v67, v249 row_shl:8 row_mask:0xf bank_mask:0xf// 0000000091E0: 7E8602FA FF0108F9
	v_mov_b32_e32 v68, v248                                    // 0000000091E8: 7E8803F8
	v_mov_b32_e32 v69, v249                                    // 0000000091EC: 7E8A03F9
	v_cndmask_b32_e64 v248, v68, v64, s[42:43]                 // 0000000091F0: D10000F8 00AA8144
	v_cndmask_b32_e64 v250, v68, v65, s[78:79]                 // 0000000091F8: D10000FA 013A8344
	v_cndmask_b32_e64 v249, v69, v66, s[42:43]                 // 000000009200: D10000F9 00AA8545
	v_cndmask_b32_e64 v251, v69, v67, s[78:79]                 // 000000009208: D10000FB 013A8745
	v_mov_b32_dpp v64, v57 row_shr:4 row_mask:0xf bank_mask:0xf// 000000009210: 7E8002FA FF011439
	v_mov_b32_dpp v65, v57 row_shl:4 row_mask:0xf bank_mask:0xf// 000000009218: 7E8202FA FF010439
	v_cndmask_b32_e64 v252, v57, v64, s[44:45]                 // 000000009220: D10000FC 00B28139
	v_cndmask_b32_e64 v253, v65, v57, s[44:45]                 // 000000009228: D10000FD 00B27341
	v_mov_b32_dpp v64, v252 row_shr:8 row_mask:0xf bank_mask:0xf// 000000009230: 7E8002FA FF0118FC
	v_mov_b32_dpp v65, v252 row_shl:8 row_mask:0xf bank_mask:0xf// 000000009238: 7E8202FA FF0108FC
	v_mov_b32_dpp v66, v253 row_shr:8 row_mask:0xf bank_mask:0xf// 000000009240: 7E8402FA FF0118FD
	v_mov_b32_dpp v67, v253 row_shl:8 row_mask:0xf bank_mask:0xf// 000000009248: 7E8602FA FF0108FD
	v_mov_b32_e32 v68, v252                                    // 000000009250: 7E8803FC
	v_mov_b32_e32 v69, v253                                    // 000000009254: 7E8A03FD
	v_cndmask_b32_e64 v252, v68, v64, s[42:43]                 // 000000009258: D10000FC 00AA8144
	v_cndmask_b32_e64 v254, v68, v65, s[78:79]                 // 000000009260: D10000FE 013A8344
	v_cndmask_b32_e64 v253, v69, v66, s[42:43]                 // 000000009268: D10000FD 00AA8545
	v_cndmask_b32_e64 v255, v69, v67, s[78:79]                 // 000000009270: D10000FF 013A8745
	buffer_load_dword v58, v56, s[36:39], 0 offen              // 000000009278: E0501000 80093A38
	v_mul_f32_e32 v112, v18, v112                              // 000000009280: 0AE0E112
	v_mul_f32_e32 v113, v18, v113                              // 000000009284: 0AE2E312
	v_mul_f32_e32 v114, v18, v114                              // 000000009288: 0AE4E512
	v_mul_f32_e32 v115, v18, v115                              // 00000000928C: 0AE6E712
	v_mul_f32_e32 v116, v18, v116                              // 000000009290: 0AE8E912
	v_mul_f32_e32 v117, v18, v117                              // 000000009294: 0AEAEB12
	v_mul_f32_e32 v118, v18, v118                              // 000000009298: 0AECED12
	v_mul_f32_e32 v119, v18, v119                              // 00000000929C: 0AEEEF12
	v_mul_f32_e32 v120, v18, v120                              // 0000000092A0: 0AF0F112
	v_mul_f32_e32 v121, v18, v121                              // 0000000092A4: 0AF2F312
	v_mul_f32_e32 v122, v18, v122                              // 0000000092A8: 0AF4F512
	v_mul_f32_e32 v123, v18, v123                              // 0000000092AC: 0AF6F712
	v_mul_f32_e32 v124, v18, v124                              // 0000000092B0: 0AF8F912
	v_mul_f32_e32 v125, v18, v125                              // 0000000092B4: 0AFAFB12
	v_mul_f32_e32 v126, v18, v126                              // 0000000092B8: 0AFCFD12
	v_mul_f32_e32 v127, v18, v127                              // 0000000092BC: 0AFEFF12
	buffer_load_dwordx4 a[48:51], v28, s[16:19], 0 offen       // 0000000092C0: E05C1000 8084301C
	v_mul_f32_dpp v112, v248, v112 quad_perm:[0,0,0,0] row_mask:0xf bank_mask:0xf// 0000000092C8: 0AE0E0FA FF0000F8
	v_mul_f32_dpp v113, v248, v113 quad_perm:[1,1,1,1] row_mask:0xf bank_mask:0xf// 0000000092D0: 0AE2E2FA FF0055F8
	v_mul_f32_dpp v114, v248, v114 quad_perm:[2,2,2,2] row_mask:0xf bank_mask:0xf// 0000000092D8: 0AE4E4FA FF00AAF8
	v_mul_f32_dpp v115, v248, v115 quad_perm:[3,3,3,3] row_mask:0xf bank_mask:0xf// 0000000092E0: 0AE6E6FA FF00FFF8
	v_mul_f32_dpp v116, v249, v116 quad_perm:[0,0,0,0] row_mask:0xf bank_mask:0xf// 0000000092E8: 0AE8E8FA FF0000F9
	v_mul_f32_dpp v117, v249, v117 quad_perm:[1,1,1,1] row_mask:0xf bank_mask:0xf// 0000000092F0: 0AEAEAFA FF0055F9
	v_mul_f32_dpp v118, v249, v118 quad_perm:[2,2,2,2] row_mask:0xf bank_mask:0xf// 0000000092F8: 0AECECFA FF00AAF9
	v_mul_f32_dpp v119, v249, v119 quad_perm:[3,3,3,3] row_mask:0xf bank_mask:0xf// 000000009300: 0AEEEEFA FF00FFF9
	v_mul_f32_dpp v120, v250, v120 quad_perm:[0,0,0,0] row_mask:0xf bank_mask:0xf// 000000009308: 0AF0F0FA FF0000FA
	v_mul_f32_dpp v121, v250, v121 quad_perm:[1,1,1,1] row_mask:0xf bank_mask:0xf// 000000009310: 0AF2F2FA FF0055FA
	v_mul_f32_dpp v122, v250, v122 quad_perm:[2,2,2,2] row_mask:0xf bank_mask:0xf// 000000009318: 0AF4F4FA FF00AAFA
	v_mul_f32_dpp v123, v250, v123 quad_perm:[3,3,3,3] row_mask:0xf bank_mask:0xf// 000000009320: 0AF6F6FA FF00FFFA
	v_mul_f32_dpp v124, v251, v124 quad_perm:[0,0,0,0] row_mask:0xf bank_mask:0xf// 000000009328: 0AF8F8FA FF0000FB
	v_mul_f32_dpp v125, v251, v125 quad_perm:[1,1,1,1] row_mask:0xf bank_mask:0xf// 000000009330: 0AFAFAFA FF0055FB
	v_mul_f32_dpp v126, v251, v126 quad_perm:[2,2,2,2] row_mask:0xf bank_mask:0xf// 000000009338: 0AFCFCFA FF00AAFB
	v_mul_f32_dpp v127, v251, v127 quad_perm:[3,3,3,3] row_mask:0xf bank_mask:0xf// 000000009340: 0AFEFEFA FF00FFFB
	buffer_load_dwordx4 a[52:55], v28, s[16:19], 0 offen offset:1024// 000000009348: E05C1400 8084341C
	v_mov_b32_e32 v48, v112                                    // 000000009350: 7E600370
	v_max3_f32 v48, v112, v113, v48                            // 000000009354: D1D30030 04C2E370
	v_max3_f32 v48, v114, v115, v48                            // 00000000935C: D1D30030 04C2E772
	v_max3_f32 v48, v116, v117, v48                            // 000000009364: D1D30030 04C2EB74
	v_max3_f32 v48, v118, v119, v48                            // 00000000936C: D1D30030 04C2EF76
	v_max3_f32 v48, v120, v121, v48                            // 000000009374: D1D30030 04C2F378
	v_max3_f32 v48, v122, v123, v48                            // 00000000937C: D1D30030 04C2F77A
	v_max3_f32 v48, v124, v125, v48                            // 000000009384: D1D30030 04C2FB7C
	v_max3_f32 v48, v126, v127, v48                            // 00000000938C: D1D30030 04C2FF7E
	ds_write_b32 v8, v48 offset:16896                          // 000000009394: D81A4200 00003008
	buffer_load_dwordx4 a[56:59], v29, s[16:19], 0 offen       // 00000000939C: E05C1000 8084381D
	v_mul_u32_u24_dpp v64, v17, v54 row_newbcast:1 row_mask:0xf bank_mask:0xf// 0000000093A4: 10806CFA FF015111
	v_mul_u32_u24_dpp v65, v17, v54 row_newbcast:5 row_mask:0xf bank_mask:0xf// 0000000093AC: 10826CFA FF015511
	v_mul_u32_u24_dpp v66, v17, v54 row_newbcast:9 row_mask:0xf bank_mask:0xf// 0000000093B4: 10846CFA FF015911
	v_mul_u32_u24_dpp v67, v17, v54 row_newbcast:13 row_mask:0xf bank_mask:0xf// 0000000093BC: 10866CFA FF015D11
	v_add_u32_e32 v34, v64, v6                                 // 0000000093C4: 68440D40
	v_add_u32_e32 v35, v65, v6                                 // 0000000093C8: 68460D41
	v_add_u32_e32 v36, v66, v6                                 // 0000000093CC: 68480D42
	v_add_u32_e32 v37, v67, v6                                 // 0000000093D0: 684A0D43
	v_mul_f32_e32 v208, v49, v208                              // 0000000093D4: 0BA1A131
	v_mul_f32_e32 v209, v49, v209                              // 0000000093D8: 0BA3A331
	v_mul_f32_e32 v210, v49, v210                              // 0000000093DC: 0BA5A531
	v_mul_f32_e32 v211, v49, v211                              // 0000000093E0: 0BA7A731
	v_mul_f32_e32 v212, v49, v212                              // 0000000093E4: 0BA9A931
	v_mul_f32_e32 v213, v49, v213                              // 0000000093E8: 0BABAB31
	v_mul_f32_e32 v214, v49, v214                              // 0000000093EC: 0BADAD31
	v_mul_f32_e32 v215, v49, v215                              // 0000000093F0: 0BAFAF31
	s_waitcnt lgkmcnt(0)                                       // 0000000093F4: BF8CC07F
	s_barrier                                                  // 0000000093F8: BF8A0000
	ds_read_b32 v64, v7 offset:16896                           // 0000000093FC: D86C4200 40000007
	ds_read_b32 v65, v7 offset:16960                           // 000000009404: D86C4240 41000007
	ds_read_b32 v66, v7 offset:17024                           // 00000000940C: D86C4280 42000007
	ds_read_b32 v67, v7 offset:17088                           // 000000009414: D86C42C0 43000007
	ds_read_b32 v68, v7 offset:17152                           // 00000000941C: D86C4300 44000007
	ds_read_b32 v69, v7 offset:17216                           // 000000009424: D86C4340 45000007
	ds_read_b32 v70, v7 offset:17280                           // 00000000942C: D86C4380 46000007
	ds_read_b32 v71, v7 offset:17344                           // 000000009434: D86C43C0 47000007
	ds_read_b32 v72, v7 offset:17408                           // 00000000943C: D86C4400 48000007
	ds_read_b32 v73, v7 offset:17472                           // 000000009444: D86C4440 49000007
	ds_read_b32 v74, v7 offset:17536                           // 00000000944C: D86C4480 4A000007
	ds_read_b32 v75, v7 offset:17600                           // 000000009454: D86C44C0 4B000007
	ds_read_b32 v76, v7 offset:17664                           // 00000000945C: D86C4500 4C000007
	ds_read_b32 v77, v7 offset:17728                           // 000000009464: D86C4540 4D000007
	ds_read_b32 v78, v7 offset:17792                           // 00000000946C: D86C4580 4E000007
	ds_read_b32 v79, v7 offset:17856                           // 000000009474: D86C45C0 4F000007
	buffer_load_dwordx4 a[60:63], v29, s[16:19], 0 offen offset:1024// 00000000947C: E05C1400 80843C1D
	v_mul_f32_e32 v176, v44, v176                              // 000000009484: 0B61612C
	v_mul_f32_e32 v177, v44, v177                              // 000000009488: 0B63632C
	v_mul_f32_e32 v178, v44, v178                              // 00000000948C: 0B65652C
	v_mul_f32_e32 v179, v44, v179                              // 000000009490: 0B67672C
	v_mul_f32_e32 v180, v44, v180                              // 000000009494: 0B69692C
	v_mul_f32_e32 v181, v44, v181                              // 000000009498: 0B6B6B2C
	v_mul_f32_e32 v182, v44, v182                              // 00000000949C: 0B6D6D2C
	v_mul_f32_e32 v183, v44, v183                              // 0000000094A0: 0B6F6F2C
	s_waitcnt lgkmcnt(0)                                       // 0000000094A4: BF8CC07F
	v_max3_f32 v48, v64, v65, v48                              // 0000000094A8: D1D30030 04C28340
	v_max3_f32 v48, v66, v67, v48                              // 0000000094B0: D1D30030 04C28742
	v_max3_f32 v48, v68, v69, v48                              // 0000000094B8: D1D30030 04C28B44
	v_max3_f32 v48, v70, v71, v48                              // 0000000094C0: D1D30030 04C28F46
	v_max3_f32 v48, v72, v73, v48                              // 0000000094C8: D1D30030 04C29348
	v_max3_f32 v48, v74, v75, v48                              // 0000000094D0: D1D30030 04C2974A
	v_max3_f32 v48, v76, v77, v48                              // 0000000094D8: D1D30030 04C29B4C
	v_max3_f32 v48, v78, v79, v48                              // 0000000094E0: D1D30030 04C29F4E
	buffer_load_dwordx4 a[96:99], v34, s[20:23], 0 offen       // 0000000094E8: E05C1000 80856022
	v_mov_b32_e32 v64, 0xff800000                              // 0000000094F0: 7E8002FF FF800000
	v_cmp_eq_u32_e64 s[40:41], v64, v11                        // 0000000094F8: D0CA0028 00021740
	s_nop 1                                                    // 000000009500: BF800001
	v_max_f32_e32 v15, v48, v11                                // 000000009504: 161E1730
	v_mul_f32_e32 v53, s64, v15                                // 000000009508: 0A6A1E40
	v_fma_f32 v112, v112, s64, -v53                            // 00000000950C: D1CB0070 84D48170
	v_fma_f32 v113, v113, s64, -v53                            // 000000009514: D1CB0071 84D48171
	v_fma_f32 v114, v114, s64, -v53                            // 00000000951C: D1CB0072 84D48172
	v_fma_f32 v115, v115, s64, -v53                            // 000000009524: D1CB0073 84D48173
	v_fma_f32 v116, v116, s64, -v53                            // 00000000952C: D1CB0074 84D48174
	v_fma_f32 v117, v117, s64, -v53                            // 000000009534: D1CB0075 84D48175
	v_fma_f32 v118, v118, s64, -v53                            // 00000000953C: D1CB0076 84D48176
	v_fma_f32 v119, v119, s64, -v53                            // 000000009544: D1CB0077 84D48177
	v_fma_f32 v120, v120, s64, -v53                            // 00000000954C: D1CB0078 84D48178
	v_fma_f32 v121, v121, s64, -v53                            // 000000009554: D1CB0079 84D48179
	v_fma_f32 v122, v122, s64, -v53                            // 00000000955C: D1CB007A 84D4817A
	v_fma_f32 v123, v123, s64, -v53                            // 000000009564: D1CB007B 84D4817B
	v_fma_f32 v124, v124, s64, -v53                            // 00000000956C: D1CB007C 84D4817C
	v_fma_f32 v125, v125, s64, -v53                            // 000000009574: D1CB007D 84D4817D
	v_fma_f32 v126, v126, s64, -v53                            // 00000000957C: D1CB007E 84D4817E
	v_fma_f32 v127, v127, s64, -v53                            // 000000009584: D1CB007F 84D4817F
	buffer_load_dwordx4 a[100:103], v35, s[20:23], 0 offen     // 00000000958C: E05C1000 80856423
	v_exp_f32_e32 v112, v112                                   // 000000009594: 7EE04170
	v_exp_f32_e32 v113, v113                                   // 000000009598: 7EE24171
	v_exp_f32_e32 v114, v114                                   // 00000000959C: 7EE44172
	v_exp_f32_e32 v115, v115                                   // 0000000095A0: 7EE64173
	v_exp_f32_e32 v116, v116                                   // 0000000095A4: 7EE84174
	v_exp_f32_e32 v117, v117                                   // 0000000095A8: 7EEA4175
	v_exp_f32_e32 v118, v118                                   // 0000000095AC: 7EEC4176
	v_exp_f32_e32 v119, v119                                   // 0000000095B0: 7EEE4177
	v_exp_f32_e32 v120, v120                                   // 0000000095B4: 7EF04178
	v_exp_f32_e32 v121, v121                                   // 0000000095B8: 7EF24179
	v_exp_f32_e32 v122, v122                                   // 0000000095BC: 7EF4417A
	v_exp_f32_e32 v123, v123                                   // 0000000095C0: 7EF6417B
	v_exp_f32_e32 v124, v124                                   // 0000000095C4: 7EF8417C
	v_exp_f32_e32 v125, v125                                   // 0000000095C8: 7EFA417D
	v_exp_f32_e32 v126, v126                                   // 0000000095CC: 7EFC417E
	v_exp_f32_e32 v127, v127                                   // 0000000095D0: 7EFE417F
	buffer_load_dwordx4 a[104:107], v36, s[20:23], 0 offen     // 0000000095D4: E05C1000 80856824
	v_mul_f32_dpp v240, v252, v112 quad_perm:[0,0,0,0] row_mask:0xf bank_mask:0xf// 0000000095DC: 0BE0E0FA FF0000FC
	v_mul_f32_dpp v241, v252, v113 quad_perm:[1,1,1,1] row_mask:0xf bank_mask:0xf// 0000000095E4: 0BE2E2FA FF0055FC
	v_mul_f32_dpp v242, v252, v114 quad_perm:[2,2,2,2] row_mask:0xf bank_mask:0xf// 0000000095EC: 0BE4E4FA FF00AAFC
	v_mul_f32_dpp v243, v252, v115 quad_perm:[3,3,3,3] row_mask:0xf bank_mask:0xf// 0000000095F4: 0BE6E6FA FF00FFFC
	v_mul_f32_dpp v244, v253, v116 quad_perm:[0,0,0,0] row_mask:0xf bank_mask:0xf// 0000000095FC: 0BE8E8FA FF0000FD
	v_mul_f32_dpp v245, v253, v117 quad_perm:[1,1,1,1] row_mask:0xf bank_mask:0xf// 000000009604: 0BEAEAFA FF0055FD
	v_mul_f32_dpp v246, v253, v118 quad_perm:[2,2,2,2] row_mask:0xf bank_mask:0xf// 00000000960C: 0BECECFA FF00AAFD
	v_mul_f32_dpp v247, v253, v119 quad_perm:[3,3,3,3] row_mask:0xf bank_mask:0xf// 000000009614: 0BEEEEFA FF00FFFD
	v_mul_f32_dpp v248, v254, v120 quad_perm:[0,0,0,0] row_mask:0xf bank_mask:0xf// 00000000961C: 0BF0F0FA FF0000FE
	v_mul_f32_dpp v249, v254, v121 quad_perm:[1,1,1,1] row_mask:0xf bank_mask:0xf// 000000009624: 0BF2F2FA FF0055FE
	v_mul_f32_dpp v250, v254, v122 quad_perm:[2,2,2,2] row_mask:0xf bank_mask:0xf// 00000000962C: 0BF4F4FA FF00AAFE
	v_mul_f32_dpp v251, v254, v123 quad_perm:[3,3,3,3] row_mask:0xf bank_mask:0xf// 000000009634: 0BF6F6FA FF00FFFE
	v_mul_f32_dpp v252, v255, v124 quad_perm:[0,0,0,0] row_mask:0xf bank_mask:0xf// 00000000963C: 0BF8F8FA FF0000FF
	v_mul_f32_dpp v253, v255, v125 quad_perm:[1,1,1,1] row_mask:0xf bank_mask:0xf// 000000009644: 0BFAFAFA FF0055FF
	v_mul_f32_dpp v254, v255, v126 quad_perm:[2,2,2,2] row_mask:0xf bank_mask:0xf// 00000000964C: 0BFCFCFA FF00AAFF
	v_mul_f32_dpp v255, v255, v127 quad_perm:[3,3,3,3] row_mask:0xf bank_mask:0xf// 000000009654: 0BFEFEFA FF00FFFF
	v_mov_b32_e32 v48, 0x358637bd                              // 00000000965C: 7E6002FF 358637BD
	v_max3_f32 v48, |v240|, |v241|, v48                        // 000000009664: D1D30330 04C3E3F0
	v_max3_f32 v48, |v242|, |v243|, v48                        // 00000000966C: D1D30330 04C3E7F2
	v_max3_f32 v48, |v244|, |v245|, v48                        // 000000009674: D1D30330 04C3EBF4
	v_max3_f32 v48, |v246|, |v247|, v48                        // 00000000967C: D1D30330 04C3EFF6
	v_max3_f32 v48, |v248|, |v249|, v48                        // 000000009684: D1D30330 04C3F3F8
	v_max3_f32 v48, |v250|, |v251|, v48                        // 00000000968C: D1D30330 04C3F7FA
	v_max3_f32 v48, |v252|, |v253|, v48                        // 000000009694: D1D30330 04C3FBFC
	v_max3_f32 v48, |v254|, |v255|, v48                        // 00000000969C: D1D30330 04C3FFFE
	buffer_load_dwordx4 a[108:111], v37, s[20:23], 0 offen     // 0000000096A4: E05C1000 80856C25
	ds_write_b32 v8, v48 offset:20992                          // 0000000096AC: D81A5200 00003008
	v_sub_f32_e32 v49, v11, v15                                // 0000000096B4: 04621F0B
	v_cndmask_b32_e64 v49, v49, 0, s[40:41]                    // 0000000096B8: D1000031 00A10131
	v_mov_b32_e32 v11, v15                                     // 0000000096C0: 7E16030F
	v_mul_f32_e32 v49, s64, v49                                // 0000000096C4: 0A626240
	v_exp_f32_e32 v49, v49                                     // 0000000096C8: 7E624131
	s_waitcnt lgkmcnt(0)                                       // 0000000096CC: BF8CC07F
	s_barrier                                                  // 0000000096D0: BF8A0000
	ds_read_b32 v64, v7 offset:20992                           // 0000000096D4: D86C5200 40000007
	ds_read_b32 v65, v7 offset:21056                           // 0000000096DC: D86C5240 41000007
	ds_read_b32 v66, v7 offset:21120                           // 0000000096E4: D86C5280 42000007
	ds_read_b32 v67, v7 offset:21184                           // 0000000096EC: D86C52C0 43000007
	ds_read_b32 v68, v7 offset:21248                           // 0000000096F4: D86C5300 44000007
	ds_read_b32 v69, v7 offset:21312                           // 0000000096FC: D86C5340 45000007
	ds_read_b32 v70, v7 offset:21376                           // 000000009704: D86C5380 46000007
	ds_read_b32 v71, v7 offset:21440                           // 00000000970C: D86C53C0 47000007
	ds_read_b32 v72, v7 offset:21504                           // 000000009714: D86C5400 48000007
	ds_read_b32 v73, v7 offset:21568                           // 00000000971C: D86C5440 49000007
	ds_read_b32 v74, v7 offset:21632                           // 000000009724: D86C5480 4A000007
	ds_read_b32 v75, v7 offset:21696                           // 00000000972C: D86C54C0 4B000007
	ds_read_b32 v76, v7 offset:21760                           // 000000009734: D86C5500 4C000007
	ds_read_b32 v77, v7 offset:21824                           // 00000000973C: D86C5540 4D000007
	ds_read_b32 v78, v7 offset:21888                           // 000000009744: D86C5580 4E000007
	ds_read_b32 v79, v7 offset:21952                           // 00000000974C: D86C55C0 4F000007
	v_mul_f32_e32 v38, v49, v38                                // 000000009754: 0A4C4D31
	v_mov_b32_e32 v15, v112                                    // 000000009758: 7E1E0370
	v_add_f32_e32 v15, v113, v15                               // 00000000975C: 021E1F71
	v_add_f32_e32 v15, v114, v15                               // 000000009760: 021E1F72
	v_add_f32_e32 v15, v115, v15                               // 000000009764: 021E1F73
	v_add_f32_e32 v15, v116, v15                               // 000000009768: 021E1F74
	v_add_f32_e32 v15, v117, v15                               // 00000000976C: 021E1F75
	v_add_f32_e32 v15, v118, v15                               // 000000009770: 021E1F76
	v_add_f32_e32 v15, v119, v15                               // 000000009774: 021E1F77
	v_add_f32_e32 v15, v120, v15                               // 000000009778: 021E1F78
	v_add_f32_e32 v15, v121, v15                               // 00000000977C: 021E1F79
	v_add_f32_e32 v15, v122, v15                               // 000000009780: 021E1F7A
	v_add_f32_e32 v15, v123, v15                               // 000000009784: 021E1F7B
	v_add_f32_e32 v15, v124, v15                               // 000000009788: 021E1F7C
	v_add_f32_e32 v15, v125, v15                               // 00000000978C: 021E1F7D
	v_add_f32_e32 v15, v126, v15                               // 000000009790: 021E1F7E
	v_add_f32_e32 v15, v127, v15                               // 000000009794: 021E1F7F
	v_add_f32_e32 v38, v15, v38                                // 000000009798: 024C4D0F
	s_waitcnt lgkmcnt(0)                                       // 00000000979C: BF8CC07F
	v_max3_f32 v48, |v64|, |v65|, v48                          // 0000000097A0: D1D30330 04C28340
	v_max3_f32 v48, |v66|, |v67|, v48                          // 0000000097A8: D1D30330 04C28742
	v_max3_f32 v48, |v68|, |v69|, v48                          // 0000000097B0: D1D30330 04C28B44
	v_max3_f32 v48, |v70|, |v71|, v48                          // 0000000097B8: D1D30330 04C28F46
	v_max3_f32 v48, |v72|, |v73|, v48                          // 0000000097C0: D1D30330 04C29348
	v_max3_f32 v48, |v74|, |v75|, v48                          // 0000000097C8: D1D30330 04C2974A
	v_max3_f32 v48, |v76|, |v77|, v48                          // 0000000097D0: D1D30330 04C29B4C
	v_max3_f32 v48, |v78|, |v79|, v48                          // 0000000097D8: D1D30330 04C29F4E
	s_nop 2                                                    // 0000000097E0: BF800002
	v_rcp_f32_e32 v48, v48                                     // 0000000097E4: 7E604530
	s_nop 1                                                    // 0000000097E8: BF800001
	v_mul_f32_e32 v48, 0x43e00000, v48                         // 0000000097EC: 0A6060FF 43E00000
	v_mul_f32_e32 v112, v48, v240                              // 0000000097F4: 0AE1E130
	v_mul_f32_e32 v113, v48, v241                              // 0000000097F8: 0AE3E330
	v_mul_f32_e32 v114, v48, v242                              // 0000000097FC: 0AE5E530
	v_mul_f32_e32 v115, v48, v243                              // 000000009800: 0AE7E730
	v_mul_f32_e32 v116, v48, v244                              // 000000009804: 0AE9E930
	v_mul_f32_e32 v117, v48, v245                              // 000000009808: 0AEBEB30
	v_mul_f32_e32 v118, v48, v246                              // 00000000980C: 0AEDED30
	v_mul_f32_e32 v119, v48, v247                              // 000000009810: 0AEFEF30
	v_mul_f32_e32 v120, v48, v248                              // 000000009814: 0AF1F130
	v_mul_f32_e32 v121, v48, v249                              // 000000009818: 0AF3F330
	v_mul_f32_e32 v122, v48, v250                              // 00000000981C: 0AF5F530
	v_mul_f32_e32 v123, v48, v251                              // 000000009820: 0AF7F730
	v_mul_f32_e32 v124, v48, v252                              // 000000009824: 0AF9F930
	v_mul_f32_e32 v125, v48, v253                              // 000000009828: 0AFBFB30
	v_mul_f32_e32 v126, v48, v254                              // 00000000982C: 0AFDFD30
	v_mul_f32_e32 v127, v48, v255                              // 000000009830: 0AFFFF30
	v_cvt_pk_fp8_f32 v112, v112, v113                          // 000000009834: D2A20070 0002E370
	v_cvt_pk_fp8_f32 v112, v114, v115 op_sel:[0,0,1]           // 00000000983C: D2A24070 0002E772
	v_cvt_pk_fp8_f32 v113, v116, v117                          // 000000009844: D2A20071 0002EB74
	v_cvt_pk_fp8_f32 v113, v118, v119 op_sel:[0,0,1]           // 00000000984C: D2A24071 0002EF76
	v_cvt_pk_fp8_f32 v114, v120, v121                          // 000000009854: D2A20072 0002F378
	v_cvt_pk_fp8_f32 v114, v122, v123 op_sel:[0,0,1]           // 00000000985C: D2A24072 0002F77A
	v_cvt_pk_fp8_f32 v115, v124, v125                          // 000000009864: D2A20073 0002FB7C
	v_cvt_pk_fp8_f32 v115, v126, v127 op_sel:[0,0,1]           // 00000000986C: D2A24073 0002FF7E
	ds_write_b32 v10, v112 offset:25088                        // 000000009874: D81A6200 0000700A
	ds_write_b32 v10, v113 offset:26112                        // 00000000987C: D81A6600 0000710A
	ds_write_b32 v10, v114 offset:27136                        // 000000009884: D81A6A00 0000720A
	ds_write_b32 v10, v115 offset:28160                        // 00000000988C: D81A6E00 0000730A
	v_add_f32_e32 v208, v208, v176                             // 000000009894: 03A161D0
	v_add_f32_e32 v209, v209, v177                             // 000000009898: 03A363D1
	v_add_f32_e32 v210, v210, v178                             // 00000000989C: 03A565D2
	v_add_f32_e32 v211, v211, v179                             // 0000000098A0: 03A767D3
	v_add_f32_e32 v212, v212, v180                             // 0000000098A4: 03A969D4
	v_add_f32_e32 v213, v213, v181                             // 0000000098A8: 03AB6BD5
	v_add_f32_e32 v214, v214, v182                             // 0000000098AC: 03AD6DD6
	v_add_f32_e32 v215, v215, v183                             // 0000000098B0: 03AF6FD7
	v_rcp_f32_e32 v44, v48                                     // 0000000098B4: 7E584530
	s_waitcnt lgkmcnt(0)                                       // 0000000098B8: BF8CC07F
	s_barrier                                                  // 0000000098BC: BF8A0000
	ds_read_b64 v[112:113], v9 offset:25088                    // 0000000098C0: D8EC6200 70000009
	ds_read_b64 v[114:115], v9 offset:25216                    // 0000000098C8: D8EC6280 72000009
	ds_read_b64 v[116:117], v9 offset:26112                    // 0000000098D0: D8EC6600 74000009
	ds_read_b64 v[118:119], v9 offset:26240                    // 0000000098D8: D8EC6680 76000009
	ds_read_b64 v[120:121], v9 offset:27136                    // 0000000098E0: D8EC6A00 78000009
	ds_read_b64 v[122:123], v9 offset:27264                    // 0000000098E8: D8EC6A80 7A000009
	ds_read_b64 v[124:125], v9 offset:28160                    // 0000000098F0: D8EC6E00 7C000009
	ds_read_b64 v[126:127], v9 offset:28288                    // 0000000098F8: D8EC6E80 7E000009
	v_mov_b32_dpp v64, v42 row_shr:4 row_mask:0xf bank_mask:0xf// 000000009900: 7E8002FA FF01142A
	v_mov_b32_dpp v65, v42 row_shl:4 row_mask:0xf bank_mask:0xf// 000000009908: 7E8202FA FF01042A
	v_cndmask_b32_e64 v248, v42, v64, s[44:45]                 // 000000009910: D10000F8 00B2812A
	v_cndmask_b32_e64 v249, v65, v42, s[44:45]                 // 000000009918: D10000F9 00B25541
	v_mov_b32_dpp v64, v248 row_shr:8 row_mask:0xf bank_mask:0xf// 000000009920: 7E8002FA FF0118F8
	v_mov_b32_dpp v65, v248 row_shl:8 row_mask:0xf bank_mask:0xf// 000000009928: 7E8202FA FF0108F8
	v_mov_b32_dpp v66, v249 row_shr:8 row_mask:0xf bank_mask:0xf// 000000009930: 7E8402FA FF0118F9
	v_mov_b32_dpp v67, v249 row_shl:8 row_mask:0xf bank_mask:0xf// 000000009938: 7E8602FA FF0108F9
	v_mov_b32_e32 v68, v248                                    // 000000009940: 7E8803F8
	v_mov_b32_e32 v69, v249                                    // 000000009944: 7E8A03F9
	v_cndmask_b32_e64 v248, v68, v64, s[42:43]                 // 000000009948: D10000F8 00AA8144
	v_cndmask_b32_e64 v250, v68, v65, s[78:79]                 // 000000009950: D10000FA 013A8344
	v_cndmask_b32_e64 v249, v69, v66, s[42:43]                 // 000000009958: D10000F9 00AA8545
	v_cndmask_b32_e64 v251, v69, v67, s[78:79]                 // 000000009960: D10000FB 013A8745
	v_mov_b32_dpp v64, v57 row_shr:4 row_mask:0xf bank_mask:0xf// 000000009968: 7E8002FA FF011439
	v_mov_b32_dpp v65, v57 row_shl:4 row_mask:0xf bank_mask:0xf// 000000009970: 7E8202FA FF010439
	v_cndmask_b32_e64 v252, v57, v64, s[44:45]                 // 000000009978: D10000FC 00B28139
	v_cndmask_b32_e64 v253, v65, v57, s[44:45]                 // 000000009980: D10000FD 00B27341
	v_mov_b32_dpp v64, v252 row_shr:8 row_mask:0xf bank_mask:0xf// 000000009988: 7E8002FA FF0118FC
	v_mov_b32_dpp v65, v252 row_shl:8 row_mask:0xf bank_mask:0xf// 000000009990: 7E8202FA FF0108FC
	v_mov_b32_dpp v66, v253 row_shr:8 row_mask:0xf bank_mask:0xf// 000000009998: 7E8402FA FF0118FD
	v_mov_b32_dpp v67, v253 row_shl:8 row_mask:0xf bank_mask:0xf// 0000000099A0: 7E8602FA FF0108FD
	v_mov_b32_e32 v68, v252                                    // 0000000099A8: 7E8803FC
	v_mov_b32_e32 v69, v253                                    // 0000000099AC: 7E8A03FD
	v_cndmask_b32_e64 v252, v68, v64, s[42:43]                 // 0000000099B0: D10000FC 00AA8144
	v_cndmask_b32_e64 v254, v68, v65, s[78:79]                 // 0000000099B8: D10000FE 013A8344
	v_cndmask_b32_e64 v253, v69, v66, s[42:43]                 // 0000000099C0: D10000FD 00AA8545
	v_cndmask_b32_e64 v255, v69, v67, s[78:79]                 // 0000000099C8: D10000FF 013A8745
	v_mul_f32_e32 v128, v19, v128                              // 0000000099D0: 0B010113
	v_mul_f32_e32 v129, v19, v129                              // 0000000099D4: 0B030313
	v_mul_f32_e32 v130, v19, v130                              // 0000000099D8: 0B050513
	v_mul_f32_e32 v131, v19, v131                              // 0000000099DC: 0B070713
	v_mul_f32_e32 v132, v19, v132                              // 0000000099E0: 0B090913
	v_mul_f32_e32 v133, v19, v133                              // 0000000099E4: 0B0B0B13
	v_mul_f32_e32 v134, v19, v134                              // 0000000099E8: 0B0D0D13
	v_mul_f32_e32 v135, v19, v135                              // 0000000099EC: 0B0F0F13
	v_mul_f32_e32 v136, v19, v136                              // 0000000099F0: 0B111113
	v_mul_f32_e32 v137, v19, v137                              // 0000000099F4: 0B131313
	v_mul_f32_e32 v138, v19, v138                              // 0000000099F8: 0B151513
	v_mul_f32_e32 v139, v19, v139                              // 0000000099FC: 0B171713
	v_mul_f32_e32 v140, v19, v140                              // 000000009A00: 0B191913
	v_mul_f32_e32 v141, v19, v141                              // 000000009A04: 0B1B1B13
	v_mul_f32_e32 v142, v19, v142                              // 000000009A08: 0B1D1D13
	v_mul_f32_e32 v143, v19, v143                              // 000000009A0C: 0B1F1F13
	v_mul_f32_dpp v128, v248, v128 quad_perm:[0,0,0,0] row_mask:0xf bank_mask:0xf// 000000009A10: 0B0100FA FF0000F8
	v_mul_f32_dpp v129, v248, v129 quad_perm:[1,1,1,1] row_mask:0xf bank_mask:0xf// 000000009A18: 0B0302FA FF0055F8
	v_mul_f32_dpp v130, v248, v130 quad_perm:[2,2,2,2] row_mask:0xf bank_mask:0xf// 000000009A20: 0B0504FA FF00AAF8
	v_mul_f32_dpp v131, v248, v131 quad_perm:[3,3,3,3] row_mask:0xf bank_mask:0xf// 000000009A28: 0B0706FA FF00FFF8
	v_mul_f32_dpp v132, v249, v132 quad_perm:[0,0,0,0] row_mask:0xf bank_mask:0xf// 000000009A30: 0B0908FA FF0000F9
	v_mul_f32_dpp v133, v249, v133 quad_perm:[1,1,1,1] row_mask:0xf bank_mask:0xf// 000000009A38: 0B0B0AFA FF0055F9
	v_mul_f32_dpp v134, v249, v134 quad_perm:[2,2,2,2] row_mask:0xf bank_mask:0xf// 000000009A40: 0B0D0CFA FF00AAF9
	v_mul_f32_dpp v135, v249, v135 quad_perm:[3,3,3,3] row_mask:0xf bank_mask:0xf// 000000009A48: 0B0F0EFA FF00FFF9
	v_mul_f32_dpp v136, v250, v136 quad_perm:[0,0,0,0] row_mask:0xf bank_mask:0xf// 000000009A50: 0B1110FA FF0000FA
	v_mul_f32_dpp v137, v250, v137 quad_perm:[1,1,1,1] row_mask:0xf bank_mask:0xf// 000000009A58: 0B1312FA FF0055FA
	v_mul_f32_dpp v138, v250, v138 quad_perm:[2,2,2,2] row_mask:0xf bank_mask:0xf// 000000009A60: 0B1514FA FF00AAFA
	v_mul_f32_dpp v139, v250, v139 quad_perm:[3,3,3,3] row_mask:0xf bank_mask:0xf// 000000009A68: 0B1716FA FF00FFFA
	v_mul_f32_dpp v140, v251, v140 quad_perm:[0,0,0,0] row_mask:0xf bank_mask:0xf// 000000009A70: 0B1918FA FF0000FB
	v_mul_f32_dpp v141, v251, v141 quad_perm:[1,1,1,1] row_mask:0xf bank_mask:0xf// 000000009A78: 0B1B1AFA FF0055FB
	v_mul_f32_dpp v142, v251, v142 quad_perm:[2,2,2,2] row_mask:0xf bank_mask:0xf// 000000009A80: 0B1D1CFA FF00AAFB
	v_mul_f32_dpp v143, v251, v143 quad_perm:[3,3,3,3] row_mask:0xf bank_mask:0xf// 000000009A88: 0B1F1EFA FF00FFFB
	v_mov_b32_e32 v48, v128                                    // 000000009A90: 7E600380
	v_max3_f32 v48, v128, v129, v48                            // 000000009A94: D1D30030 04C30380
	v_max3_f32 v48, v130, v131, v48                            // 000000009A9C: D1D30030 04C30782
	v_max3_f32 v48, v132, v133, v48                            // 000000009AA4: D1D30030 04C30B84
	v_max3_f32 v48, v134, v135, v48                            // 000000009AAC: D1D30030 04C30F86
	v_max3_f32 v48, v136, v137, v48                            // 000000009AB4: D1D30030 04C31388
	v_max3_f32 v48, v138, v139, v48                            // 000000009ABC: D1D30030 04C3178A
	v_max3_f32 v48, v140, v141, v48                            // 000000009AC4: D1D30030 04C31B8C
	v_max3_f32 v48, v142, v143, v48                            // 000000009ACC: D1D30030 04C31F8E
	ds_write_b32 v8, v48 offset:16896                          // 000000009AD4: D81A4200 00003008
	v_mul_f32_e32 v216, v50, v216                              // 000000009ADC: 0BB1B132
	v_mul_f32_e32 v217, v50, v217                              // 000000009AE0: 0BB3B332
	v_mul_f32_e32 v218, v50, v218                              // 000000009AE4: 0BB5B532
	v_mul_f32_e32 v219, v50, v219                              // 000000009AE8: 0BB7B732
	v_mul_f32_e32 v220, v50, v220                              // 000000009AEC: 0BB9B932
	v_mul_f32_e32 v221, v50, v221                              // 000000009AF0: 0BBBBB32
	v_mul_f32_e32 v222, v50, v222                              // 000000009AF4: 0BBDBD32
	v_mul_f32_e32 v223, v50, v223                              // 000000009AF8: 0BBFBF32
	s_waitcnt lgkmcnt(0)                                       // 000000009AFC: BF8CC07F
	s_barrier                                                  // 000000009B00: BF8A0000
	ds_read_b32 v64, v7 offset:16896                           // 000000009B04: D86C4200 40000007
	ds_read_b32 v65, v7 offset:16960                           // 000000009B0C: D86C4240 41000007
	ds_read_b32 v66, v7 offset:17024                           // 000000009B14: D86C4280 42000007
	ds_read_b32 v67, v7 offset:17088                           // 000000009B1C: D86C42C0 43000007
	ds_read_b32 v68, v7 offset:17152                           // 000000009B24: D86C4300 44000007
	ds_read_b32 v69, v7 offset:17216                           // 000000009B2C: D86C4340 45000007
	ds_read_b32 v70, v7 offset:17280                           // 000000009B34: D86C4380 46000007
	ds_read_b32 v71, v7 offset:17344                           // 000000009B3C: D86C43C0 47000007
	ds_read_b32 v72, v7 offset:17408                           // 000000009B44: D86C4400 48000007
	ds_read_b32 v73, v7 offset:17472                           // 000000009B4C: D86C4440 49000007
	ds_read_b32 v74, v7 offset:17536                           // 000000009B54: D86C4480 4A000007
	ds_read_b32 v75, v7 offset:17600                           // 000000009B5C: D86C44C0 4B000007
	ds_read_b32 v76, v7 offset:17664                           // 000000009B64: D86C4500 4C000007
	ds_read_b32 v77, v7 offset:17728                           // 000000009B6C: D86C4540 4D000007
	ds_read_b32 v78, v7 offset:17792                           // 000000009B74: D86C4580 4E000007
	ds_read_b32 v79, v7 offset:17856                           // 000000009B7C: D86C45C0 4F000007
	v_mul_f32_e32 v184, v45, v184                              // 000000009B84: 0B71712D
	v_mul_f32_e32 v185, v45, v185                              // 000000009B88: 0B73732D
	v_mul_f32_e32 v186, v45, v186                              // 000000009B8C: 0B75752D
	v_mul_f32_e32 v187, v45, v187                              // 000000009B90: 0B77772D
	v_mul_f32_e32 v188, v45, v188                              // 000000009B94: 0B79792D
	v_mul_f32_e32 v189, v45, v189                              // 000000009B98: 0B7B7B2D
	v_mul_f32_e32 v190, v45, v190                              // 000000009B9C: 0B7D7D2D
	v_mul_f32_e32 v191, v45, v191                              // 000000009BA0: 0B7F7F2D
	s_waitcnt lgkmcnt(0)                                       // 000000009BA4: BF8CC07F
	v_max3_f32 v48, v64, v65, v48                              // 000000009BA8: D1D30030 04C28340
	v_max3_f32 v48, v66, v67, v48                              // 000000009BB0: D1D30030 04C28742
	v_max3_f32 v48, v68, v69, v48                              // 000000009BB8: D1D30030 04C28B44
	v_max3_f32 v48, v70, v71, v48                              // 000000009BC0: D1D30030 04C28F46
	v_max3_f32 v48, v72, v73, v48                              // 000000009BC8: D1D30030 04C29348
	v_max3_f32 v48, v74, v75, v48                              // 000000009BD0: D1D30030 04C2974A
	v_max3_f32 v48, v76, v77, v48                              // 000000009BD8: D1D30030 04C29B4C
	v_max3_f32 v48, v78, v79, v48                              // 000000009BE0: D1D30030 04C29F4E
	v_mov_b32_e32 v64, 0xff800000                              // 000000009BE8: 7E8002FF FF800000
	v_cmp_eq_u32_e64 s[40:41], v64, v12                        // 000000009BF0: D0CA0028 00021940
	s_nop 1                                                    // 000000009BF8: BF800001
	v_max_f32_e32 v15, v48, v12                                // 000000009BFC: 161E1930
	v_mul_f32_e32 v53, s64, v15                                // 000000009C00: 0A6A1E40
	v_fma_f32 v128, v128, s64, -v53                            // 000000009C04: D1CB0080 84D48180
	v_fma_f32 v129, v129, s64, -v53                            // 000000009C0C: D1CB0081 84D48181
	v_fma_f32 v130, v130, s64, -v53                            // 000000009C14: D1CB0082 84D48182
	v_fma_f32 v131, v131, s64, -v53                            // 000000009C1C: D1CB0083 84D48183
	v_fma_f32 v132, v132, s64, -v53                            // 000000009C24: D1CB0084 84D48184
	v_fma_f32 v133, v133, s64, -v53                            // 000000009C2C: D1CB0085 84D48185
	v_fma_f32 v134, v134, s64, -v53                            // 000000009C34: D1CB0086 84D48186
	v_fma_f32 v135, v135, s64, -v53                            // 000000009C3C: D1CB0087 84D48187
	v_fma_f32 v136, v136, s64, -v53                            // 000000009C44: D1CB0088 84D48188
	v_fma_f32 v137, v137, s64, -v53                            // 000000009C4C: D1CB0089 84D48189
	v_fma_f32 v138, v138, s64, -v53                            // 000000009C54: D1CB008A 84D4818A
	v_fma_f32 v139, v139, s64, -v53                            // 000000009C5C: D1CB008B 84D4818B
	v_fma_f32 v140, v140, s64, -v53                            // 000000009C64: D1CB008C 84D4818C
	v_fma_f32 v141, v141, s64, -v53                            // 000000009C6C: D1CB008D 84D4818D
	v_fma_f32 v142, v142, s64, -v53                            // 000000009C74: D1CB008E 84D4818E
	v_fma_f32 v143, v143, s64, -v53                            // 000000009C7C: D1CB008F 84D4818F
	v_exp_f32_e32 v128, v128                                   // 000000009C84: 7F004180
	v_exp_f32_e32 v129, v129                                   // 000000009C88: 7F024181
	v_exp_f32_e32 v130, v130                                   // 000000009C8C: 7F044182
	v_exp_f32_e32 v131, v131                                   // 000000009C90: 7F064183
	v_exp_f32_e32 v132, v132                                   // 000000009C94: 7F084184
	v_exp_f32_e32 v133, v133                                   // 000000009C98: 7F0A4185
	v_exp_f32_e32 v134, v134                                   // 000000009C9C: 7F0C4186
	v_exp_f32_e32 v135, v135                                   // 000000009CA0: 7F0E4187
	v_exp_f32_e32 v136, v136                                   // 000000009CA4: 7F104188
	v_exp_f32_e32 v137, v137                                   // 000000009CA8: 7F124189
	v_exp_f32_e32 v138, v138                                   // 000000009CAC: 7F14418A
	v_exp_f32_e32 v139, v139                                   // 000000009CB0: 7F16418B
	v_exp_f32_e32 v140, v140                                   // 000000009CB4: 7F18418C
	v_exp_f32_e32 v141, v141                                   // 000000009CB8: 7F1A418D
	v_exp_f32_e32 v142, v142                                   // 000000009CBC: 7F1C418E
	v_exp_f32_e32 v143, v143                                   // 000000009CC0: 7F1E418F
	v_mul_f32_dpp v240, v252, v128 quad_perm:[0,0,0,0] row_mask:0xf bank_mask:0xf// 000000009CC4: 0BE100FA FF0000FC
	v_mul_f32_dpp v241, v252, v129 quad_perm:[1,1,1,1] row_mask:0xf bank_mask:0xf// 000000009CCC: 0BE302FA FF0055FC
	v_mul_f32_dpp v242, v252, v130 quad_perm:[2,2,2,2] row_mask:0xf bank_mask:0xf// 000000009CD4: 0BE504FA FF00AAFC
	v_mul_f32_dpp v243, v252, v131 quad_perm:[3,3,3,3] row_mask:0xf bank_mask:0xf// 000000009CDC: 0BE706FA FF00FFFC
	v_mul_f32_dpp v244, v253, v132 quad_perm:[0,0,0,0] row_mask:0xf bank_mask:0xf// 000000009CE4: 0BE908FA FF0000FD
	v_mul_f32_dpp v245, v253, v133 quad_perm:[1,1,1,1] row_mask:0xf bank_mask:0xf// 000000009CEC: 0BEB0AFA FF0055FD
	v_mul_f32_dpp v246, v253, v134 quad_perm:[2,2,2,2] row_mask:0xf bank_mask:0xf// 000000009CF4: 0BED0CFA FF00AAFD
	v_mul_f32_dpp v247, v253, v135 quad_perm:[3,3,3,3] row_mask:0xf bank_mask:0xf// 000000009CFC: 0BEF0EFA FF00FFFD
	v_mul_f32_dpp v248, v254, v136 quad_perm:[0,0,0,0] row_mask:0xf bank_mask:0xf// 000000009D04: 0BF110FA FF0000FE
	v_mul_f32_dpp v249, v254, v137 quad_perm:[1,1,1,1] row_mask:0xf bank_mask:0xf// 000000009D0C: 0BF312FA FF0055FE
	v_mul_f32_dpp v250, v254, v138 quad_perm:[2,2,2,2] row_mask:0xf bank_mask:0xf// 000000009D14: 0BF514FA FF00AAFE
	v_mul_f32_dpp v251, v254, v139 quad_perm:[3,3,3,3] row_mask:0xf bank_mask:0xf// 000000009D1C: 0BF716FA FF00FFFE
	v_mul_f32_dpp v252, v255, v140 quad_perm:[0,0,0,0] row_mask:0xf bank_mask:0xf// 000000009D24: 0BF918FA FF0000FF
	v_mul_f32_dpp v253, v255, v141 quad_perm:[1,1,1,1] row_mask:0xf bank_mask:0xf// 000000009D2C: 0BFB1AFA FF0055FF
	v_mul_f32_dpp v254, v255, v142 quad_perm:[2,2,2,2] row_mask:0xf bank_mask:0xf// 000000009D34: 0BFD1CFA FF00AAFF
	v_mul_f32_dpp v255, v255, v143 quad_perm:[3,3,3,3] row_mask:0xf bank_mask:0xf// 000000009D3C: 0BFF1EFA FF00FFFF
	v_mov_b32_e32 v48, 0x358637bd                              // 000000009D44: 7E6002FF 358637BD
	v_max3_f32 v48, |v240|, |v241|, v48                        // 000000009D4C: D1D30330 04C3E3F0
	v_max3_f32 v48, |v242|, |v243|, v48                        // 000000009D54: D1D30330 04C3E7F2
	v_max3_f32 v48, |v244|, |v245|, v48                        // 000000009D5C: D1D30330 04C3EBF4
	v_max3_f32 v48, |v246|, |v247|, v48                        // 000000009D64: D1D30330 04C3EFF6
	v_max3_f32 v48, |v248|, |v249|, v48                        // 000000009D6C: D1D30330 04C3F3F8
	v_max3_f32 v48, |v250|, |v251|, v48                        // 000000009D74: D1D30330 04C3F7FA
	v_max3_f32 v48, |v252|, |v253|, v48                        // 000000009D7C: D1D30330 04C3FBFC
	v_max3_f32 v48, |v254|, |v255|, v48                        // 000000009D84: D1D30330 04C3FFFE
	ds_write_b32 v8, v48 offset:20992                          // 000000009D8C: D81A5200 00003008
	v_sub_f32_e32 v50, v12, v15                                // 000000009D94: 04641F0C
	v_cndmask_b32_e64 v50, v50, 0, s[40:41]                    // 000000009D98: D1000032 00A10132
	v_mov_b32_e32 v12, v15                                     // 000000009DA0: 7E18030F
	v_mul_f32_e32 v50, s64, v50                                // 000000009DA4: 0A646440
	v_exp_f32_e32 v50, v50                                     // 000000009DA8: 7E644132
	s_waitcnt lgkmcnt(0)                                       // 000000009DAC: BF8CC07F
	s_barrier                                                  // 000000009DB0: BF8A0000
	ds_read_b32 v64, v7 offset:20992                           // 000000009DB4: D86C5200 40000007
	ds_read_b32 v65, v7 offset:21056                           // 000000009DBC: D86C5240 41000007
	ds_read_b32 v66, v7 offset:21120                           // 000000009DC4: D86C5280 42000007
	ds_read_b32 v67, v7 offset:21184                           // 000000009DCC: D86C52C0 43000007
	ds_read_b32 v68, v7 offset:21248                           // 000000009DD4: D86C5300 44000007
	ds_read_b32 v69, v7 offset:21312                           // 000000009DDC: D86C5340 45000007
	ds_read_b32 v70, v7 offset:21376                           // 000000009DE4: D86C5380 46000007
	ds_read_b32 v71, v7 offset:21440                           // 000000009DEC: D86C53C0 47000007
	ds_read_b32 v72, v7 offset:21504                           // 000000009DF4: D86C5400 48000007
	ds_read_b32 v73, v7 offset:21568                           // 000000009DFC: D86C5440 49000007
	ds_read_b32 v74, v7 offset:21632                           // 000000009E04: D86C5480 4A000007
	ds_read_b32 v75, v7 offset:21696                           // 000000009E0C: D86C54C0 4B000007
	ds_read_b32 v76, v7 offset:21760                           // 000000009E14: D86C5500 4C000007
	ds_read_b32 v77, v7 offset:21824                           // 000000009E1C: D86C5540 4D000007
	ds_read_b32 v78, v7 offset:21888                           // 000000009E24: D86C5580 4E000007
	ds_read_b32 v79, v7 offset:21952                           // 000000009E2C: D86C55C0 4F000007
	v_mul_f32_e32 v39, v50, v39                                // 000000009E34: 0A4E4F32
	v_mov_b32_e32 v15, v128                                    // 000000009E38: 7E1E0380
	v_add_f32_e32 v15, v129, v15                               // 000000009E3C: 021E1F81
	v_add_f32_e32 v15, v130, v15                               // 000000009E40: 021E1F82
	v_add_f32_e32 v15, v131, v15                               // 000000009E44: 021E1F83
	v_add_f32_e32 v15, v132, v15                               // 000000009E48: 021E1F84
	v_add_f32_e32 v15, v133, v15                               // 000000009E4C: 021E1F85
	v_add_f32_e32 v15, v134, v15                               // 000000009E50: 021E1F86
	v_add_f32_e32 v15, v135, v15                               // 000000009E54: 021E1F87
	v_add_f32_e32 v15, v136, v15                               // 000000009E58: 021E1F88
	v_add_f32_e32 v15, v137, v15                               // 000000009E5C: 021E1F89
	v_add_f32_e32 v15, v138, v15                               // 000000009E60: 021E1F8A
	v_add_f32_e32 v15, v139, v15                               // 000000009E64: 021E1F8B
	v_add_f32_e32 v15, v140, v15                               // 000000009E68: 021E1F8C
	v_add_f32_e32 v15, v141, v15                               // 000000009E6C: 021E1F8D
	v_add_f32_e32 v15, v142, v15                               // 000000009E70: 021E1F8E
	v_add_f32_e32 v15, v143, v15                               // 000000009E74: 021E1F8F
	v_add_f32_e32 v39, v15, v39                                // 000000009E78: 024E4F0F
	s_waitcnt lgkmcnt(0)                                       // 000000009E7C: BF8CC07F
	v_max3_f32 v48, |v64|, |v65|, v48                          // 000000009E80: D1D30330 04C28340
	v_max3_f32 v48, |v66|, |v67|, v48                          // 000000009E88: D1D30330 04C28742
	v_max3_f32 v48, |v68|, |v69|, v48                          // 000000009E90: D1D30330 04C28B44
	v_max3_f32 v48, |v70|, |v71|, v48                          // 000000009E98: D1D30330 04C28F46
	v_max3_f32 v48, |v72|, |v73|, v48                          // 000000009EA0: D1D30330 04C29348
	v_max3_f32 v48, |v74|, |v75|, v48                          // 000000009EA8: D1D30330 04C2974A
	v_max3_f32 v48, |v76|, |v77|, v48                          // 000000009EB0: D1D30330 04C29B4C
	v_max3_f32 v48, |v78|, |v79|, v48                          // 000000009EB8: D1D30330 04C29F4E
	s_nop 2                                                    // 000000009EC0: BF800002
	v_rcp_f32_e32 v48, v48                                     // 000000009EC4: 7E604530
	s_nop 1                                                    // 000000009EC8: BF800001
	v_mul_f32_e32 v48, 0x43e00000, v48                         // 000000009ECC: 0A6060FF 43E00000
	v_mul_f32_e32 v128, v48, v240                              // 000000009ED4: 0B01E130
	v_mul_f32_e32 v129, v48, v241                              // 000000009ED8: 0B03E330
	v_mul_f32_e32 v130, v48, v242                              // 000000009EDC: 0B05E530
	v_mul_f32_e32 v131, v48, v243                              // 000000009EE0: 0B07E730
	v_mul_f32_e32 v132, v48, v244                              // 000000009EE4: 0B09E930
	v_mul_f32_e32 v133, v48, v245                              // 000000009EE8: 0B0BEB30
	v_mul_f32_e32 v134, v48, v246                              // 000000009EEC: 0B0DED30
	v_mul_f32_e32 v135, v48, v247                              // 000000009EF0: 0B0FEF30
	v_mul_f32_e32 v136, v48, v248                              // 000000009EF4: 0B11F130
	v_mul_f32_e32 v137, v48, v249                              // 000000009EF8: 0B13F330
	v_mul_f32_e32 v138, v48, v250                              // 000000009EFC: 0B15F530
	v_mul_f32_e32 v139, v48, v251                              // 000000009F00: 0B17F730
	v_mul_f32_e32 v140, v48, v252                              // 000000009F04: 0B19F930
	v_mul_f32_e32 v141, v48, v253                              // 000000009F08: 0B1BFB30
	v_mul_f32_e32 v142, v48, v254                              // 000000009F0C: 0B1DFD30
	v_mul_f32_e32 v143, v48, v255                              // 000000009F10: 0B1FFF30
	v_cvt_pk_fp8_f32 v128, v128, v129                          // 000000009F14: D2A20080 00030380
	v_cvt_pk_fp8_f32 v128, v130, v131 op_sel:[0,0,1]           // 000000009F1C: D2A24080 00030782
	v_cvt_pk_fp8_f32 v129, v132, v133                          // 000000009F24: D2A20081 00030B84
	v_cvt_pk_fp8_f32 v129, v134, v135 op_sel:[0,0,1]           // 000000009F2C: D2A24081 00030F86
	v_cvt_pk_fp8_f32 v130, v136, v137                          // 000000009F34: D2A20082 00031388
	v_cvt_pk_fp8_f32 v130, v138, v139 op_sel:[0,0,1]           // 000000009F3C: D2A24082 0003178A
	v_cvt_pk_fp8_f32 v131, v140, v141                          // 000000009F44: D2A20083 00031B8C
	v_cvt_pk_fp8_f32 v131, v142, v143 op_sel:[0,0,1]           // 000000009F4C: D2A24083 00031F8E
	ds_write_b32 v10, v128 offset:29184                        // 000000009F54: D81A7200 0000800A
	ds_write_b32 v10, v129 offset:30208                        // 000000009F5C: D81A7600 0000810A
	ds_write_b32 v10, v130 offset:31232                        // 000000009F64: D81A7A00 0000820A
	ds_write_b32 v10, v131 offset:32256                        // 000000009F6C: D81A7E00 0000830A
	v_add_f32_e32 v216, v216, v184                             // 000000009F74: 03B171D8
	v_add_f32_e32 v217, v217, v185                             // 000000009F78: 03B373D9
	v_add_f32_e32 v218, v218, v186                             // 000000009F7C: 03B575DA
	v_add_f32_e32 v219, v219, v187                             // 000000009F80: 03B777DB
	v_add_f32_e32 v220, v220, v188                             // 000000009F84: 03B979DC
	v_add_f32_e32 v221, v221, v189                             // 000000009F88: 03BB7BDD
	v_add_f32_e32 v222, v222, v190                             // 000000009F8C: 03BD7DDE
	v_add_f32_e32 v223, v223, v191                             // 000000009F90: 03BF7FDF
	v_rcp_f32_e32 v45, v48                                     // 000000009F94: 7E5A4530
	s_waitcnt lgkmcnt(0)                                       // 000000009F98: BF8CC07F
	s_barrier                                                  // 000000009F9C: BF8A0000
	ds_read_b64 v[128:129], v9 offset:29184                    // 000000009FA0: D8EC7200 80000009
	ds_read_b64 v[130:131], v9 offset:29312                    // 000000009FA8: D8EC7280 82000009
	ds_read_b64 v[132:133], v9 offset:30208                    // 000000009FB0: D8EC7600 84000009
	ds_read_b64 v[134:135], v9 offset:30336                    // 000000009FB8: D8EC7680 86000009
	ds_read_b64 v[136:137], v9 offset:31232                    // 000000009FC0: D8EC7A00 88000009
	ds_read_b64 v[138:139], v9 offset:31360                    // 000000009FC8: D8EC7A80 8A000009
	ds_read_b64 v[140:141], v9 offset:32256                    // 000000009FD0: D8EC7E00 8C000009
	ds_read_b64 v[142:143], v9 offset:32384                    // 000000009FD8: D8EC7E80 8E000009
	s_waitcnt vmcnt(15)                                        // 000000009FE0: BF8C0F7F
	v_mfma_f32_16x16x32_fp8_fp8 v[176:179], a[64:65], v[112:113], 0// 000000009FE4: D3F300B0 0A02E140
	buffer_load_dwordx4 a[112:115], v34, s[20:23], 0 offen offset:1024// 000000009FEC: E05C1400 80857022
	v_mfma_f32_16x16x32_fp8_fp8 v[176:179], a[66:67], v[114:115], v[176:179]// 000000009FF4: D3F300B0 0EC2E542
	v_mfma_f32_16x16x32_fp8_fp8 v[176:179], a[68:69], v[116:117], v[176:179]// 000000009FFC: D3F300B0 0EC2E944
	v_mfma_f32_16x16x32_fp8_fp8 v[176:179], a[70:71], v[118:119], v[176:179]// 00000000A004: D3F300B0 0EC2ED46
	v_mfma_f32_16x16x32_fp8_fp8 v[176:179], a[72:73], v[120:121], v[176:179]// 00000000A00C: D3F300B0 0EC2F148
	buffer_load_dwordx4 a[116:119], v35, s[20:23], 0 offen offset:1024// 00000000A014: E05C1400 80857423
	v_mfma_f32_16x16x32_fp8_fp8 v[176:179], a[74:75], v[122:123], v[176:179]// 00000000A01C: D3F300B0 0EC2F54A
	v_mfma_f32_16x16x32_fp8_fp8 v[176:179], a[76:77], v[124:125], v[176:179]// 00000000A024: D3F300B0 0EC2F94C
	v_mfma_f32_16x16x32_fp8_fp8 v[176:179], a[78:79], v[126:127], v[176:179]// 00000000A02C: D3F300B0 0EC2FD4E
	v_mfma_f32_16x16x32_fp8_fp8 v[180:183], a[80:81], v[112:113], 0// 00000000A034: D3F300B4 0A02E150
	buffer_load_dwordx4 a[120:123], v36, s[20:23], 0 offen offset:1024// 00000000A03C: E05C1400 80857824
	v_mfma_f32_16x16x32_fp8_fp8 v[180:183], a[82:83], v[114:115], v[180:183]// 00000000A044: D3F300B4 0ED2E552
	v_mfma_f32_16x16x32_fp8_fp8 v[180:183], a[84:85], v[116:117], v[180:183]// 00000000A04C: D3F300B4 0ED2E954
	v_mfma_f32_16x16x32_fp8_fp8 v[180:183], a[86:87], v[118:119], v[180:183]// 00000000A054: D3F300B4 0ED2ED56
	v_mfma_f32_16x16x32_fp8_fp8 v[180:183], a[88:89], v[120:121], v[180:183]// 00000000A05C: D3F300B4 0ED2F158
	buffer_load_dwordx4 a[124:127], v37, s[20:23], 0 offen offset:1024// 00000000A064: E05C1400 80857C25
	v_mfma_f32_16x16x32_fp8_fp8 v[180:183], a[90:91], v[122:123], v[180:183]// 00000000A06C: D3F300B4 0ED2F55A
	v_mfma_f32_16x16x32_fp8_fp8 v[180:183], a[92:93], v[124:125], v[180:183]// 00000000A074: D3F300B4 0ED2F95C
	s_lshr_b32 s57, s70, 4                                     // 00000000A07C: 8F398446
	s_add_u32 s57, 48, s57                                     // 00000000A080: 803939B0
	v_mfma_f32_16x16x32_fp8_fp8 v[180:183], a[94:95], v[126:127], v[180:183]// 00000000A084: D3F300B4 0ED2FD5E
	s_cmp_ge_u32 s57, s73                                      // 00000000A08C: BF094939
	s_cselect_b32 s56, 0, s56                                  // 00000000A090: 85383880
	v_mfma_f32_16x16x32_fp8_fp8 v[184:187], a[64:65], v[128:129], 0// 00000000A094: D3F300B8 0A030140
	v_mfma_f32_16x16x32_fp8_fp8 v[184:187], a[66:67], v[130:131], v[184:187]// 00000000A09C: D3F300B8 0EE30542
	v_mfma_f32_16x16x32_fp8_fp8 v[184:187], a[68:69], v[132:133], v[184:187]// 00000000A0A4: D3F300B8 0EE30944
	v_mfma_f32_16x16x32_fp8_fp8 v[184:187], a[70:71], v[134:135], v[184:187]// 00000000A0AC: D3F300B8 0EE30D46
	v_mfma_f32_16x16x32_fp8_fp8 v[184:187], a[72:73], v[136:137], v[184:187]// 00000000A0B4: D3F300B8 0EE31148
	v_mfma_f32_16x16x32_fp8_fp8 v[184:187], a[74:75], v[138:139], v[184:187]// 00000000A0BC: D3F300B8 0EE3154A
	v_mfma_f32_16x16x32_fp8_fp8 v[184:187], a[76:77], v[140:141], v[184:187]// 00000000A0C4: D3F300B8 0EE3194C
	v_mfma_f32_16x16x32_fp8_fp8 v[184:187], a[78:79], v[142:143], v[184:187]// 00000000A0CC: D3F300B8 0EE31D4E
	v_mfma_f32_16x16x32_fp8_fp8 v[188:191], a[80:81], v[128:129], 0// 00000000A0D4: D3F300BC 0A030150
	v_mfma_f32_16x16x32_fp8_fp8 v[188:191], a[82:83], v[130:131], v[188:191]// 00000000A0DC: D3F300BC 0EF30552
	v_mfma_f32_16x16x32_fp8_fp8 v[188:191], a[84:85], v[132:133], v[188:191]// 00000000A0E4: D3F300BC 0EF30954
	v_mfma_f32_16x16x32_fp8_fp8 v[188:191], a[86:87], v[134:135], v[188:191]// 00000000A0EC: D3F300BC 0EF30D56
	v_mfma_f32_16x16x32_fp8_fp8 v[188:191], a[88:89], v[136:137], v[188:191]// 00000000A0F4: D3F300BC 0EF31158
	v_mfma_f32_16x16x32_fp8_fp8 v[188:191], a[90:91], v[138:139], v[188:191]// 00000000A0FC: D3F300BC 0EF3155A
	v_mfma_f32_16x16x32_fp8_fp8 v[188:191], a[92:93], v[140:141], v[188:191]// 00000000A104: D3F300BC 0EF3195C
	v_mfma_f32_16x16x32_fp8_fp8 v[188:191], a[94:95], v[142:143], v[188:191]// 00000000A10C: D3F300BC 0EF31D5E
	v_add_u32_e32 v1, s56, v1                                  // 00000000A114: 68020238
	s_addk_i32 s70, 0x100                                      // 00000000A118: B7460100
	s_cmp_lt_i32 s70, s71                                      // 00000000A11C: BF044746
	s_cbranch_scc0 label_1B88                                  // 00000000A120: BF84FBBF
	s_waitcnt vmcnt(8) lgkmcnt(0)                              // 00000000A124: BF8C0078
	v_mul_u32_u24_dpp v64, v16, v54 row_newbcast:0 row_mask:0xf bank_mask:0xf// 00000000A128: 10806CFA FF015010
	v_mul_u32_u24_dpp v65, v16, v54 row_newbcast:4 row_mask:0xf bank_mask:0xf// 00000000A130: 10826CFA FF015410
	v_mul_u32_u24_dpp v66, v16, v54 row_newbcast:8 row_mask:0xf bank_mask:0xf// 00000000A138: 10846CFA FF015810
	v_mul_u32_u24_dpp v67, v16, v54 row_newbcast:12 row_mask:0xf bank_mask:0xf// 00000000A140: 10866CFA FF015C10
	v_add_u32_e32 v22, v64, v5                                 // 00000000A148: 682C0B40
	v_add_u32_e32 v23, v65, v5                                 // 00000000A14C: 682E0B41
	v_add_u32_e32 v24, v66, v5                                 // 00000000A150: 68300B42
	v_add_u32_e32 v25, v67, v5                                 // 00000000A154: 68320B43
	v_mul_u32_u24_dpp v64, v16, v63 quad_perm:[0,0,0,0] row_mask:0xf bank_mask:0xf// 00000000A158: 10807EFA FF000010
	v_add_u32_e32 v2, v64, v59                                 // 00000000A160: 68047740
	v_mul_u32_u24_dpp v64, v16, v63 quad_perm:[0,0,0,0] row_mask:0xf bank_mask:0xf// 00000000A164: 10807EFA FF000010
	v_add_u32_e32 v55, v64, v60                                // 00000000A16C: 686E7940
	v_mfma_f32_16x16x32_fp8_fp8 v[112:115], a[32:33], v[80:81], 0// 00000000A170: D3F30070 0A02A120
	buffer_load_dwordx4 a[0:3], v22, s[16:19], 0 offen         // 00000000A178: E05C1000 80840016
	v_mfma_f32_16x16x32_fp8_fp8 v[112:115], a[34:35], v[82:83], v[112:115]// 00000000A180: D3F30070 0DC2A522
	v_mfma_f32_16x16x32_fp8_fp8 v[112:115], a[36:37], v[84:85], v[112:115]// 00000000A188: D3F30070 0DC2A924
	buffer_load_dword v17, v1, s[24:27], 0 offen               // 00000000A190: E0501000 80061101
	v_mfma_f32_16x16x32_fp8_fp8 v[112:115], a[38:39], v[86:87], v[112:115]// 00000000A198: D3F30070 0DC2AD26
	v_mfma_f32_16x16x32_fp8_fp8 v[116:119], a[40:41], v[80:81], 0// 00000000A1A0: D3F30074 0A02A128
	buffer_load_dwordx4 a[4:7], v22, s[16:19], 0 offen offset:1024// 00000000A1A8: E05C1400 80840416
	v_mfma_f32_16x16x32_fp8_fp8 v[116:119], a[42:43], v[82:83], v[116:119]// 00000000A1B0: D3F30074 0DD2A52A
	v_mfma_f32_16x16x32_fp8_fp8 v[116:119], a[44:45], v[84:85], v[116:119]// 00000000A1B8: D3F30074 0DD2A92C
	v_mfma_f32_16x16x32_fp8_fp8 v[116:119], a[46:47], v[86:87], v[116:119]// 00000000A1C0: D3F30074 0DD2AD2E
	v_mfma_f32_16x16x32_fp8_fp8 v[120:123], a[48:49], v[80:81], 0// 00000000A1C8: D3F30078 0A02A130
	buffer_load_dwordx4 a[8:11], v23, s[16:19], 0 offen        // 00000000A1D0: E05C1000 80840817
	v_mfma_f32_16x16x32_fp8_fp8 v[120:123], a[50:51], v[82:83], v[120:123]// 00000000A1D8: D3F30078 0DE2A532
	v_mfma_f32_16x16x32_fp8_fp8 v[120:123], a[52:53], v[84:85], v[120:123]// 00000000A1E0: D3F30078 0DE2A934
	v_mfma_f32_16x16x32_fp8_fp8 v[120:123], a[54:55], v[86:87], v[120:123]// 00000000A1E8: D3F30078 0DE2AD36
	v_mfma_f32_16x16x32_fp8_fp8 v[124:127], a[56:57], v[80:81], 0// 00000000A1F0: D3F3007C 0A02A138
	buffer_load_dwordx4 a[12:15], v23, s[16:19], 0 offen offset:1024// 00000000A1F8: E05C1400 80840C17
	v_mfma_f32_16x16x32_fp8_fp8 v[124:127], a[58:59], v[82:83], v[124:127]// 00000000A200: D3F3007C 0DF2A53A
	v_mfma_f32_16x16x32_fp8_fp8 v[124:127], a[60:61], v[84:85], v[124:127]// 00000000A208: D3F3007C 0DF2A93C
	v_mfma_f32_16x16x32_fp8_fp8 v[124:127], a[62:63], v[86:87], v[124:127]// 00000000A210: D3F3007C 0DF2AD3E
	v_mfma_f32_16x16x32_fp8_fp8 v[128:131], a[32:33], v[88:89], 0// 00000000A218: D3F30080 0A02B120
	v_mfma_f32_16x16x32_fp8_fp8 v[128:131], a[34:35], v[90:91], v[128:131]// 00000000A220: D3F30080 0E02B522
	v_mfma_f32_16x16x32_fp8_fp8 v[128:131], a[36:37], v[92:93], v[128:131]// 00000000A228: D3F30080 0E02B924
	v_mfma_f32_16x16x32_fp8_fp8 v[128:131], a[38:39], v[94:95], v[128:131]// 00000000A230: D3F30080 0E02BD26
	v_mfma_f32_16x16x32_fp8_fp8 v[132:135], a[40:41], v[88:89], 0// 00000000A238: D3F30084 0A02B128
	v_mfma_f32_16x16x32_fp8_fp8 v[132:135], a[42:43], v[90:91], v[132:135]// 00000000A240: D3F30084 0E12B52A
	v_mfma_f32_16x16x32_fp8_fp8 v[132:135], a[44:45], v[92:93], v[132:135]// 00000000A248: D3F30084 0E12B92C
	v_mfma_f32_16x16x32_fp8_fp8 v[132:135], a[46:47], v[94:95], v[132:135]// 00000000A250: D3F30084 0E12BD2E
	v_mfma_f32_16x16x32_fp8_fp8 v[136:139], a[48:49], v[88:89], 0// 00000000A258: D3F30088 0A02B130
	v_mfma_f32_16x16x32_fp8_fp8 v[136:139], a[50:51], v[90:91], v[136:139]// 00000000A260: D3F30088 0E22B532
	v_mfma_f32_16x16x32_fp8_fp8 v[136:139], a[52:53], v[92:93], v[136:139]// 00000000A268: D3F30088 0E22B934
	v_mfma_f32_16x16x32_fp8_fp8 v[136:139], a[54:55], v[94:95], v[136:139]// 00000000A270: D3F30088 0E22BD36
	v_mfma_f32_16x16x32_fp8_fp8 v[140:143], a[56:57], v[88:89], 0// 00000000A278: D3F3008C 0A02B138
	v_mfma_f32_16x16x32_fp8_fp8 v[140:143], a[58:59], v[90:91], v[140:143]// 00000000A280: D3F3008C 0E32B53A
	v_mfma_f32_16x16x32_fp8_fp8 v[140:143], a[60:61], v[92:93], v[140:143]// 00000000A288: D3F3008C 0E32B93C
	v_mfma_f32_16x16x32_fp8_fp8 v[140:143], a[62:63], v[94:95], v[140:143]// 00000000A290: D3F3008C 0E32BD3E
	buffer_load_dword v42, v2, s[32:35], 0 offen               // 00000000A298: E0501000 80082A02
	v_mov_b32_dpp v64, v43 row_shr:4 row_mask:0xf bank_mask:0xf// 00000000A2A0: 7E8002FA FF01142B
	v_mov_b32_dpp v65, v43 row_shl:4 row_mask:0xf bank_mask:0xf// 00000000A2A8: 7E8202FA FF01042B
	v_cndmask_b32_e64 v248, v43, v64, s[44:45]                 // 00000000A2B0: D10000F8 00B2812B
	v_cndmask_b32_e64 v249, v65, v43, s[44:45]                 // 00000000A2B8: D10000F9 00B25741
	v_mov_b32_dpp v64, v248 row_shr:8 row_mask:0xf bank_mask:0xf// 00000000A2C0: 7E8002FA FF0118F8
	v_mov_b32_dpp v65, v248 row_shl:8 row_mask:0xf bank_mask:0xf// 00000000A2C8: 7E8202FA FF0108F8
	v_mov_b32_dpp v66, v249 row_shr:8 row_mask:0xf bank_mask:0xf// 00000000A2D0: 7E8402FA FF0118F9
	v_mov_b32_dpp v67, v249 row_shl:8 row_mask:0xf bank_mask:0xf// 00000000A2D8: 7E8602FA FF0108F9
	v_mov_b32_e32 v68, v248                                    // 00000000A2E0: 7E8803F8
	v_mov_b32_e32 v69, v249                                    // 00000000A2E4: 7E8A03F9
	v_cndmask_b32_e64 v248, v68, v64, s[42:43]                 // 00000000A2E8: D10000F8 00AA8144
	v_cndmask_b32_e64 v250, v68, v65, s[78:79]                 // 00000000A2F0: D10000FA 013A8344
	v_cndmask_b32_e64 v249, v69, v66, s[42:43]                 // 00000000A2F8: D10000F9 00AA8545
	v_cndmask_b32_e64 v251, v69, v67, s[78:79]                 // 00000000A300: D10000FB 013A8745
	v_mov_b32_dpp v64, v58 row_shr:4 row_mask:0xf bank_mask:0xf// 00000000A308: 7E8002FA FF01143A
	v_mov_b32_dpp v65, v58 row_shl:4 row_mask:0xf bank_mask:0xf// 00000000A310: 7E8202FA FF01043A
	v_cndmask_b32_e64 v252, v58, v64, s[44:45]                 // 00000000A318: D10000FC 00B2813A
	v_cndmask_b32_e64 v253, v65, v58, s[44:45]                 // 00000000A320: D10000FD 00B27541
	v_mov_b32_dpp v64, v252 row_shr:8 row_mask:0xf bank_mask:0xf// 00000000A328: 7E8002FA FF0118FC
	v_mov_b32_dpp v65, v252 row_shl:8 row_mask:0xf bank_mask:0xf// 00000000A330: 7E8202FA FF0108FC
	v_mov_b32_dpp v66, v253 row_shr:8 row_mask:0xf bank_mask:0xf// 00000000A338: 7E8402FA FF0118FD
	v_mov_b32_dpp v67, v253 row_shl:8 row_mask:0xf bank_mask:0xf// 00000000A340: 7E8602FA FF0108FD
	v_mov_b32_e32 v68, v252                                    // 00000000A348: 7E8803FC
	v_mov_b32_e32 v69, v253                                    // 00000000A34C: 7E8A03FD
	v_cndmask_b32_e64 v252, v68, v64, s[42:43]                 // 00000000A350: D10000FC 00AA8144
	v_cndmask_b32_e64 v254, v68, v65, s[78:79]                 // 00000000A358: D10000FE 013A8344
	v_cndmask_b32_e64 v253, v69, v66, s[42:43]                 // 00000000A360: D10000FD 00AA8545
	v_cndmask_b32_e64 v255, v69, v67, s[78:79]                 // 00000000A368: D10000FF 013A8745
	buffer_load_dword v57, v55, s[36:39], 0 offen              // 00000000A370: E0501000 80093937
	v_mul_f32_e32 v112, v18, v112                              // 00000000A378: 0AE0E112
	v_mul_f32_e32 v113, v18, v113                              // 00000000A37C: 0AE2E312
	v_mul_f32_e32 v114, v18, v114                              // 00000000A380: 0AE4E512
	v_mul_f32_e32 v115, v18, v115                              // 00000000A384: 0AE6E712
	v_mul_f32_e32 v116, v18, v116                              // 00000000A388: 0AE8E912
	v_mul_f32_e32 v117, v18, v117                              // 00000000A38C: 0AEAEB12
	v_mul_f32_e32 v118, v18, v118                              // 00000000A390: 0AECED12
	v_mul_f32_e32 v119, v18, v119                              // 00000000A394: 0AEEEF12
	v_mul_f32_e32 v120, v18, v120                              // 00000000A398: 0AF0F112
	v_mul_f32_e32 v121, v18, v121                              // 00000000A39C: 0AF2F312
	v_mul_f32_e32 v122, v18, v122                              // 00000000A3A0: 0AF4F512
	v_mul_f32_e32 v123, v18, v123                              // 00000000A3A4: 0AF6F712
	v_mul_f32_e32 v124, v18, v124                              // 00000000A3A8: 0AF8F912
	v_mul_f32_e32 v125, v18, v125                              // 00000000A3AC: 0AFAFB12
	v_mul_f32_e32 v126, v18, v126                              // 00000000A3B0: 0AFCFD12
	v_mul_f32_e32 v127, v18, v127                              // 00000000A3B4: 0AFEFF12
	buffer_load_dwordx4 a[16:19], v24, s[16:19], 0 offen       // 00000000A3B8: E05C1000 80841018
	v_mul_f32_dpp v112, v248, v112 quad_perm:[0,0,0,0] row_mask:0xf bank_mask:0xf// 00000000A3C0: 0AE0E0FA FF0000F8
	v_mul_f32_dpp v113, v248, v113 quad_perm:[1,1,1,1] row_mask:0xf bank_mask:0xf// 00000000A3C8: 0AE2E2FA FF0055F8
	v_mul_f32_dpp v114, v248, v114 quad_perm:[2,2,2,2] row_mask:0xf bank_mask:0xf// 00000000A3D0: 0AE4E4FA FF00AAF8
	v_mul_f32_dpp v115, v248, v115 quad_perm:[3,3,3,3] row_mask:0xf bank_mask:0xf// 00000000A3D8: 0AE6E6FA FF00FFF8
	v_mul_f32_dpp v116, v249, v116 quad_perm:[0,0,0,0] row_mask:0xf bank_mask:0xf// 00000000A3E0: 0AE8E8FA FF0000F9
	v_mul_f32_dpp v117, v249, v117 quad_perm:[1,1,1,1] row_mask:0xf bank_mask:0xf// 00000000A3E8: 0AEAEAFA FF0055F9
	v_mul_f32_dpp v118, v249, v118 quad_perm:[2,2,2,2] row_mask:0xf bank_mask:0xf// 00000000A3F0: 0AECECFA FF00AAF9
	v_mul_f32_dpp v119, v249, v119 quad_perm:[3,3,3,3] row_mask:0xf bank_mask:0xf// 00000000A3F8: 0AEEEEFA FF00FFF9
	v_mul_f32_dpp v120, v250, v120 quad_perm:[0,0,0,0] row_mask:0xf bank_mask:0xf// 00000000A400: 0AF0F0FA FF0000FA
	v_mul_f32_dpp v121, v250, v121 quad_perm:[1,1,1,1] row_mask:0xf bank_mask:0xf// 00000000A408: 0AF2F2FA FF0055FA
	v_mul_f32_dpp v122, v250, v122 quad_perm:[2,2,2,2] row_mask:0xf bank_mask:0xf// 00000000A410: 0AF4F4FA FF00AAFA
	v_mul_f32_dpp v123, v250, v123 quad_perm:[3,3,3,3] row_mask:0xf bank_mask:0xf// 00000000A418: 0AF6F6FA FF00FFFA
	v_mul_f32_dpp v124, v251, v124 quad_perm:[0,0,0,0] row_mask:0xf bank_mask:0xf// 00000000A420: 0AF8F8FA FF0000FB
	v_mul_f32_dpp v125, v251, v125 quad_perm:[1,1,1,1] row_mask:0xf bank_mask:0xf// 00000000A428: 0AFAFAFA FF0055FB
	v_mul_f32_dpp v126, v251, v126 quad_perm:[2,2,2,2] row_mask:0xf bank_mask:0xf// 00000000A430: 0AFCFCFA FF00AAFB
	v_mul_f32_dpp v127, v251, v127 quad_perm:[3,3,3,3] row_mask:0xf bank_mask:0xf// 00000000A438: 0AFEFEFA FF00FFFB
	buffer_load_dwordx4 a[20:23], v24, s[16:19], 0 offen offset:1024// 00000000A440: E05C1400 80841418
	v_mov_b32_e32 v48, v112                                    // 00000000A448: 7E600370
	v_max3_f32 v48, v112, v113, v48                            // 00000000A44C: D1D30030 04C2E370
	v_max3_f32 v48, v114, v115, v48                            // 00000000A454: D1D30030 04C2E772
	v_max3_f32 v48, v116, v117, v48                            // 00000000A45C: D1D30030 04C2EB74
	v_max3_f32 v48, v118, v119, v48                            // 00000000A464: D1D30030 04C2EF76
	v_max3_f32 v48, v120, v121, v48                            // 00000000A46C: D1D30030 04C2F378
	v_max3_f32 v48, v122, v123, v48                            // 00000000A474: D1D30030 04C2F77A
	v_max3_f32 v48, v124, v125, v48                            // 00000000A47C: D1D30030 04C2FB7C
	v_max3_f32 v48, v126, v127, v48                            // 00000000A484: D1D30030 04C2FF7E
	ds_write_b32 v8, v48 offset:16896                          // 00000000A48C: D81A4200 00003008
	buffer_load_dwordx4 a[24:27], v25, s[16:19], 0 offen       // 00000000A494: E05C1000 80841819
	v_mul_u32_u24_dpp v64, v16, v54 row_newbcast:1 row_mask:0xf bank_mask:0xf// 00000000A49C: 10806CFA FF015110
	v_mul_u32_u24_dpp v65, v16, v54 row_newbcast:5 row_mask:0xf bank_mask:0xf// 00000000A4A4: 10826CFA FF015510
	v_mul_u32_u24_dpp v66, v16, v54 row_newbcast:9 row_mask:0xf bank_mask:0xf// 00000000A4AC: 10846CFA FF015910
	v_mul_u32_u24_dpp v67, v16, v54 row_newbcast:13 row_mask:0xf bank_mask:0xf// 00000000A4B4: 10866CFA FF015D10
	v_add_u32_e32 v30, v64, v6                                 // 00000000A4BC: 683C0D40
	v_add_u32_e32 v31, v65, v6                                 // 00000000A4C0: 683E0D41
	v_add_u32_e32 v32, v66, v6                                 // 00000000A4C4: 68400D42
	v_add_u32_e32 v33, v67, v6                                 // 00000000A4C8: 68420D43
	v_mul_f32_e32 v208, v49, v208                              // 00000000A4CC: 0BA1A131
	v_mul_f32_e32 v209, v49, v209                              // 00000000A4D0: 0BA3A331
	v_mul_f32_e32 v210, v49, v210                              // 00000000A4D4: 0BA5A531
	v_mul_f32_e32 v211, v49, v211                              // 00000000A4D8: 0BA7A731
	v_mul_f32_e32 v212, v49, v212                              // 00000000A4DC: 0BA9A931
	v_mul_f32_e32 v213, v49, v213                              // 00000000A4E0: 0BABAB31
	v_mul_f32_e32 v214, v49, v214                              // 00000000A4E4: 0BADAD31
	v_mul_f32_e32 v215, v49, v215                              // 00000000A4E8: 0BAFAF31
	s_waitcnt lgkmcnt(0)                                       // 00000000A4EC: BF8CC07F
	s_barrier                                                  // 00000000A4F0: BF8A0000
	ds_read_b32 v64, v7 offset:16896                           // 00000000A4F4: D86C4200 40000007
	ds_read_b32 v65, v7 offset:16960                           // 00000000A4FC: D86C4240 41000007
	ds_read_b32 v66, v7 offset:17024                           // 00000000A504: D86C4280 42000007
	ds_read_b32 v67, v7 offset:17088                           // 00000000A50C: D86C42C0 43000007
	ds_read_b32 v68, v7 offset:17152                           // 00000000A514: D86C4300 44000007
	ds_read_b32 v69, v7 offset:17216                           // 00000000A51C: D86C4340 45000007
	ds_read_b32 v70, v7 offset:17280                           // 00000000A524: D86C4380 46000007
	ds_read_b32 v71, v7 offset:17344                           // 00000000A52C: D86C43C0 47000007
	ds_read_b32 v72, v7 offset:17408                           // 00000000A534: D86C4400 48000007
	ds_read_b32 v73, v7 offset:17472                           // 00000000A53C: D86C4440 49000007
	ds_read_b32 v74, v7 offset:17536                           // 00000000A544: D86C4480 4A000007
	ds_read_b32 v75, v7 offset:17600                           // 00000000A54C: D86C44C0 4B000007
	ds_read_b32 v76, v7 offset:17664                           // 00000000A554: D86C4500 4C000007
	ds_read_b32 v77, v7 offset:17728                           // 00000000A55C: D86C4540 4D000007
	ds_read_b32 v78, v7 offset:17792                           // 00000000A564: D86C4580 4E000007
	ds_read_b32 v79, v7 offset:17856                           // 00000000A56C: D86C45C0 4F000007
	buffer_load_dwordx4 a[28:31], v25, s[16:19], 0 offen offset:1024// 00000000A574: E05C1400 80841C19
	v_mul_f32_e32 v176, v44, v176                              // 00000000A57C: 0B61612C
	v_mul_f32_e32 v177, v44, v177                              // 00000000A580: 0B63632C
	v_mul_f32_e32 v178, v44, v178                              // 00000000A584: 0B65652C
	v_mul_f32_e32 v179, v44, v179                              // 00000000A588: 0B67672C
	v_mul_f32_e32 v180, v44, v180                              // 00000000A58C: 0B69692C
	v_mul_f32_e32 v181, v44, v181                              // 00000000A590: 0B6B6B2C
	v_mul_f32_e32 v182, v44, v182                              // 00000000A594: 0B6D6D2C
	v_mul_f32_e32 v183, v44, v183                              // 00000000A598: 0B6F6F2C
	s_waitcnt lgkmcnt(0)                                       // 00000000A59C: BF8CC07F
	v_max3_f32 v48, v64, v65, v48                              // 00000000A5A0: D1D30030 04C28340
	v_max3_f32 v48, v66, v67, v48                              // 00000000A5A8: D1D30030 04C28742
	v_max3_f32 v48, v68, v69, v48                              // 00000000A5B0: D1D30030 04C28B44
	v_max3_f32 v48, v70, v71, v48                              // 00000000A5B8: D1D30030 04C28F46
	v_max3_f32 v48, v72, v73, v48                              // 00000000A5C0: D1D30030 04C29348
	v_max3_f32 v48, v74, v75, v48                              // 00000000A5C8: D1D30030 04C2974A
	v_max3_f32 v48, v76, v77, v48                              // 00000000A5D0: D1D30030 04C29B4C
	v_max3_f32 v48, v78, v79, v48                              // 00000000A5D8: D1D30030 04C29F4E
	buffer_load_dwordx4 a[64:67], v30, s[20:23], 0 offen       // 00000000A5E0: E05C1000 8085401E
	v_mov_b32_e32 v64, 0xff800000                              // 00000000A5E8: 7E8002FF FF800000
	v_cmp_eq_u32_e64 s[40:41], v64, v11                        // 00000000A5F0: D0CA0028 00021740
	s_nop 1                                                    // 00000000A5F8: BF800001
	v_max_f32_e32 v15, v48, v11                                // 00000000A5FC: 161E1730
	v_mul_f32_e32 v53, s64, v15                                // 00000000A600: 0A6A1E40
	v_fma_f32 v112, v112, s64, -v53                            // 00000000A604: D1CB0070 84D48170
	v_fma_f32 v113, v113, s64, -v53                            // 00000000A60C: D1CB0071 84D48171
	v_fma_f32 v114, v114, s64, -v53                            // 00000000A614: D1CB0072 84D48172
	v_fma_f32 v115, v115, s64, -v53                            // 00000000A61C: D1CB0073 84D48173
	v_fma_f32 v116, v116, s64, -v53                            // 00000000A624: D1CB0074 84D48174
	v_fma_f32 v117, v117, s64, -v53                            // 00000000A62C: D1CB0075 84D48175
	v_fma_f32 v118, v118, s64, -v53                            // 00000000A634: D1CB0076 84D48176
	v_fma_f32 v119, v119, s64, -v53                            // 00000000A63C: D1CB0077 84D48177
	v_fma_f32 v120, v120, s64, -v53                            // 00000000A644: D1CB0078 84D48178
	v_fma_f32 v121, v121, s64, -v53                            // 00000000A64C: D1CB0079 84D48179
	v_fma_f32 v122, v122, s64, -v53                            // 00000000A654: D1CB007A 84D4817A
	v_fma_f32 v123, v123, s64, -v53                            // 00000000A65C: D1CB007B 84D4817B
	v_fma_f32 v124, v124, s64, -v53                            // 00000000A664: D1CB007C 84D4817C
	v_fma_f32 v125, v125, s64, -v53                            // 00000000A66C: D1CB007D 84D4817D
	v_fma_f32 v126, v126, s64, -v53                            // 00000000A674: D1CB007E 84D4817E
	v_fma_f32 v127, v127, s64, -v53                            // 00000000A67C: D1CB007F 84D4817F
	buffer_load_dwordx4 a[68:71], v31, s[20:23], 0 offen       // 00000000A684: E05C1000 8085441F
	v_exp_f32_e32 v112, v112                                   // 00000000A68C: 7EE04170
	v_exp_f32_e32 v113, v113                                   // 00000000A690: 7EE24171
	v_exp_f32_e32 v114, v114                                   // 00000000A694: 7EE44172
	v_exp_f32_e32 v115, v115                                   // 00000000A698: 7EE64173
	v_exp_f32_e32 v116, v116                                   // 00000000A69C: 7EE84174
	v_exp_f32_e32 v117, v117                                   // 00000000A6A0: 7EEA4175
	v_exp_f32_e32 v118, v118                                   // 00000000A6A4: 7EEC4176
	v_exp_f32_e32 v119, v119                                   // 00000000A6A8: 7EEE4177
	v_exp_f32_e32 v120, v120                                   // 00000000A6AC: 7EF04178
	v_exp_f32_e32 v121, v121                                   // 00000000A6B0: 7EF24179
	v_exp_f32_e32 v122, v122                                   // 00000000A6B4: 7EF4417A
	v_exp_f32_e32 v123, v123                                   // 00000000A6B8: 7EF6417B
	v_exp_f32_e32 v124, v124                                   // 00000000A6BC: 7EF8417C
	v_exp_f32_e32 v125, v125                                   // 00000000A6C0: 7EFA417D
	v_exp_f32_e32 v126, v126                                   // 00000000A6C4: 7EFC417E
	v_exp_f32_e32 v127, v127                                   // 00000000A6C8: 7EFE417F
	buffer_load_dwordx4 a[72:75], v32, s[20:23], 0 offen       // 00000000A6CC: E05C1000 80854820
	v_mul_f32_dpp v240, v252, v112 quad_perm:[0,0,0,0] row_mask:0xf bank_mask:0xf// 00000000A6D4: 0BE0E0FA FF0000FC
	v_mul_f32_dpp v241, v252, v113 quad_perm:[1,1,1,1] row_mask:0xf bank_mask:0xf// 00000000A6DC: 0BE2E2FA FF0055FC
	v_mul_f32_dpp v242, v252, v114 quad_perm:[2,2,2,2] row_mask:0xf bank_mask:0xf// 00000000A6E4: 0BE4E4FA FF00AAFC
	v_mul_f32_dpp v243, v252, v115 quad_perm:[3,3,3,3] row_mask:0xf bank_mask:0xf// 00000000A6EC: 0BE6E6FA FF00FFFC
	v_mul_f32_dpp v244, v253, v116 quad_perm:[0,0,0,0] row_mask:0xf bank_mask:0xf// 00000000A6F4: 0BE8E8FA FF0000FD
	v_mul_f32_dpp v245, v253, v117 quad_perm:[1,1,1,1] row_mask:0xf bank_mask:0xf// 00000000A6FC: 0BEAEAFA FF0055FD
	v_mul_f32_dpp v246, v253, v118 quad_perm:[2,2,2,2] row_mask:0xf bank_mask:0xf// 00000000A704: 0BECECFA FF00AAFD
	v_mul_f32_dpp v247, v253, v119 quad_perm:[3,3,3,3] row_mask:0xf bank_mask:0xf// 00000000A70C: 0BEEEEFA FF00FFFD
	v_mul_f32_dpp v248, v254, v120 quad_perm:[0,0,0,0] row_mask:0xf bank_mask:0xf// 00000000A714: 0BF0F0FA FF0000FE
	v_mul_f32_dpp v249, v254, v121 quad_perm:[1,1,1,1] row_mask:0xf bank_mask:0xf// 00000000A71C: 0BF2F2FA FF0055FE
	v_mul_f32_dpp v250, v254, v122 quad_perm:[2,2,2,2] row_mask:0xf bank_mask:0xf// 00000000A724: 0BF4F4FA FF00AAFE
	v_mul_f32_dpp v251, v254, v123 quad_perm:[3,3,3,3] row_mask:0xf bank_mask:0xf// 00000000A72C: 0BF6F6FA FF00FFFE
	v_mul_f32_dpp v252, v255, v124 quad_perm:[0,0,0,0] row_mask:0xf bank_mask:0xf// 00000000A734: 0BF8F8FA FF0000FF
	v_mul_f32_dpp v253, v255, v125 quad_perm:[1,1,1,1] row_mask:0xf bank_mask:0xf// 00000000A73C: 0BFAFAFA FF0055FF
	v_mul_f32_dpp v254, v255, v126 quad_perm:[2,2,2,2] row_mask:0xf bank_mask:0xf// 00000000A744: 0BFCFCFA FF00AAFF
	v_mul_f32_dpp v255, v255, v127 quad_perm:[3,3,3,3] row_mask:0xf bank_mask:0xf// 00000000A74C: 0BFEFEFA FF00FFFF
	v_mov_b32_e32 v48, 0x358637bd                              // 00000000A754: 7E6002FF 358637BD
	v_max3_f32 v48, |v240|, |v241|, v48                        // 00000000A75C: D1D30330 04C3E3F0
	v_max3_f32 v48, |v242|, |v243|, v48                        // 00000000A764: D1D30330 04C3E7F2
	v_max3_f32 v48, |v244|, |v245|, v48                        // 00000000A76C: D1D30330 04C3EBF4
	v_max3_f32 v48, |v246|, |v247|, v48                        // 00000000A774: D1D30330 04C3EFF6
	v_max3_f32 v48, |v248|, |v249|, v48                        // 00000000A77C: D1D30330 04C3F3F8
	v_max3_f32 v48, |v250|, |v251|, v48                        // 00000000A784: D1D30330 04C3F7FA
	v_max3_f32 v48, |v252|, |v253|, v48                        // 00000000A78C: D1D30330 04C3FBFC
	v_max3_f32 v48, |v254|, |v255|, v48                        // 00000000A794: D1D30330 04C3FFFE
	buffer_load_dwordx4 a[76:79], v33, s[20:23], 0 offen       // 00000000A79C: E05C1000 80854C21
	ds_write_b32 v8, v48 offset:20992                          // 00000000A7A4: D81A5200 00003008
	v_sub_f32_e32 v49, v11, v15                                // 00000000A7AC: 04621F0B
	v_cndmask_b32_e64 v49, v49, 0, s[40:41]                    // 00000000A7B0: D1000031 00A10131
	v_mov_b32_e32 v11, v15                                     // 00000000A7B8: 7E16030F
	v_mul_f32_e32 v49, s64, v49                                // 00000000A7BC: 0A626240
	v_exp_f32_e32 v49, v49                                     // 00000000A7C0: 7E624131
	s_waitcnt lgkmcnt(0)                                       // 00000000A7C4: BF8CC07F
	s_barrier                                                  // 00000000A7C8: BF8A0000
	ds_read_b32 v64, v7 offset:20992                           // 00000000A7CC: D86C5200 40000007
	ds_read_b32 v65, v7 offset:21056                           // 00000000A7D4: D86C5240 41000007
	ds_read_b32 v66, v7 offset:21120                           // 00000000A7DC: D86C5280 42000007
	ds_read_b32 v67, v7 offset:21184                           // 00000000A7E4: D86C52C0 43000007
	ds_read_b32 v68, v7 offset:21248                           // 00000000A7EC: D86C5300 44000007
	ds_read_b32 v69, v7 offset:21312                           // 00000000A7F4: D86C5340 45000007
	ds_read_b32 v70, v7 offset:21376                           // 00000000A7FC: D86C5380 46000007
	ds_read_b32 v71, v7 offset:21440                           // 00000000A804: D86C53C0 47000007
	ds_read_b32 v72, v7 offset:21504                           // 00000000A80C: D86C5400 48000007
	ds_read_b32 v73, v7 offset:21568                           // 00000000A814: D86C5440 49000007
	ds_read_b32 v74, v7 offset:21632                           // 00000000A81C: D86C5480 4A000007
	ds_read_b32 v75, v7 offset:21696                           // 00000000A824: D86C54C0 4B000007
	ds_read_b32 v76, v7 offset:21760                           // 00000000A82C: D86C5500 4C000007
	ds_read_b32 v77, v7 offset:21824                           // 00000000A834: D86C5540 4D000007
	ds_read_b32 v78, v7 offset:21888                           // 00000000A83C: D86C5580 4E000007
	ds_read_b32 v79, v7 offset:21952                           // 00000000A844: D86C55C0 4F000007
	v_mul_f32_e32 v38, v49, v38                                // 00000000A84C: 0A4C4D31
	v_mov_b32_e32 v15, v112                                    // 00000000A850: 7E1E0370
	v_add_f32_e32 v15, v113, v15                               // 00000000A854: 021E1F71
	v_add_f32_e32 v15, v114, v15                               // 00000000A858: 021E1F72
	v_add_f32_e32 v15, v115, v15                               // 00000000A85C: 021E1F73
	v_add_f32_e32 v15, v116, v15                               // 00000000A860: 021E1F74
	v_add_f32_e32 v15, v117, v15                               // 00000000A864: 021E1F75
	v_add_f32_e32 v15, v118, v15                               // 00000000A868: 021E1F76
	v_add_f32_e32 v15, v119, v15                               // 00000000A86C: 021E1F77
	v_add_f32_e32 v15, v120, v15                               // 00000000A870: 021E1F78
	v_add_f32_e32 v15, v121, v15                               // 00000000A874: 021E1F79
	v_add_f32_e32 v15, v122, v15                               // 00000000A878: 021E1F7A
	v_add_f32_e32 v15, v123, v15                               // 00000000A87C: 021E1F7B
	v_add_f32_e32 v15, v124, v15                               // 00000000A880: 021E1F7C
	v_add_f32_e32 v15, v125, v15                               // 00000000A884: 021E1F7D
	v_add_f32_e32 v15, v126, v15                               // 00000000A888: 021E1F7E
	v_add_f32_e32 v15, v127, v15                               // 00000000A88C: 021E1F7F
	v_add_f32_e32 v38, v15, v38                                // 00000000A890: 024C4D0F
	s_waitcnt lgkmcnt(0)                                       // 00000000A894: BF8CC07F
	v_max3_f32 v48, |v64|, |v65|, v48                          // 00000000A898: D1D30330 04C28340
	v_max3_f32 v48, |v66|, |v67|, v48                          // 00000000A8A0: D1D30330 04C28742
	v_max3_f32 v48, |v68|, |v69|, v48                          // 00000000A8A8: D1D30330 04C28B44
	v_max3_f32 v48, |v70|, |v71|, v48                          // 00000000A8B0: D1D30330 04C28F46
	v_max3_f32 v48, |v72|, |v73|, v48                          // 00000000A8B8: D1D30330 04C29348
	v_max3_f32 v48, |v74|, |v75|, v48                          // 00000000A8C0: D1D30330 04C2974A
	v_max3_f32 v48, |v76|, |v77|, v48                          // 00000000A8C8: D1D30330 04C29B4C
	v_max3_f32 v48, |v78|, |v79|, v48                          // 00000000A8D0: D1D30330 04C29F4E
	s_nop 2                                                    // 00000000A8D8: BF800002
	v_rcp_f32_e32 v48, v48                                     // 00000000A8DC: 7E604530
	s_nop 1                                                    // 00000000A8E0: BF800001
	v_mul_f32_e32 v48, 0x43e00000, v48                         // 00000000A8E4: 0A6060FF 43E00000
	v_mul_f32_e32 v112, v48, v240                              // 00000000A8EC: 0AE1E130
	v_mul_f32_e32 v113, v48, v241                              // 00000000A8F0: 0AE3E330
	v_mul_f32_e32 v114, v48, v242                              // 00000000A8F4: 0AE5E530
	v_mul_f32_e32 v115, v48, v243                              // 00000000A8F8: 0AE7E730
	v_mul_f32_e32 v116, v48, v244                              // 00000000A8FC: 0AE9E930
	v_mul_f32_e32 v117, v48, v245                              // 00000000A900: 0AEBEB30
	v_mul_f32_e32 v118, v48, v246                              // 00000000A904: 0AEDED30
	v_mul_f32_e32 v119, v48, v247                              // 00000000A908: 0AEFEF30
	v_mul_f32_e32 v120, v48, v248                              // 00000000A90C: 0AF1F130
	v_mul_f32_e32 v121, v48, v249                              // 00000000A910: 0AF3F330
	v_mul_f32_e32 v122, v48, v250                              // 00000000A914: 0AF5F530
	v_mul_f32_e32 v123, v48, v251                              // 00000000A918: 0AF7F730
	v_mul_f32_e32 v124, v48, v252                              // 00000000A91C: 0AF9F930
	v_mul_f32_e32 v125, v48, v253                              // 00000000A920: 0AFBFB30
	v_mul_f32_e32 v126, v48, v254                              // 00000000A924: 0AFDFD30
	v_mul_f32_e32 v127, v48, v255                              // 00000000A928: 0AFFFF30
	v_cvt_pk_fp8_f32 v112, v112, v113                          // 00000000A92C: D2A20070 0002E370
	v_cvt_pk_fp8_f32 v112, v114, v115 op_sel:[0,0,1]           // 00000000A934: D2A24070 0002E772
	v_cvt_pk_fp8_f32 v113, v116, v117                          // 00000000A93C: D2A20071 0002EB74
	v_cvt_pk_fp8_f32 v113, v118, v119 op_sel:[0,0,1]           // 00000000A944: D2A24071 0002EF76
	v_cvt_pk_fp8_f32 v114, v120, v121                          // 00000000A94C: D2A20072 0002F378
	v_cvt_pk_fp8_f32 v114, v122, v123 op_sel:[0,0,1]           // 00000000A954: D2A24072 0002F77A
	v_cvt_pk_fp8_f32 v115, v124, v125                          // 00000000A95C: D2A20073 0002FB7C
	v_cvt_pk_fp8_f32 v115, v126, v127 op_sel:[0,0,1]           // 00000000A964: D2A24073 0002FF7E
	ds_write_b32 v10, v112 offset:25088                        // 00000000A96C: D81A6200 0000700A
	ds_write_b32 v10, v113 offset:26112                        // 00000000A974: D81A6600 0000710A
	ds_write_b32 v10, v114 offset:27136                        // 00000000A97C: D81A6A00 0000720A
	ds_write_b32 v10, v115 offset:28160                        // 00000000A984: D81A6E00 0000730A
	v_add_f32_e32 v208, v208, v176                             // 00000000A98C: 03A161D0
	v_add_f32_e32 v209, v209, v177                             // 00000000A990: 03A363D1
	v_add_f32_e32 v210, v210, v178                             // 00000000A994: 03A565D2
	v_add_f32_e32 v211, v211, v179                             // 00000000A998: 03A767D3
	v_add_f32_e32 v212, v212, v180                             // 00000000A99C: 03A969D4
	v_add_f32_e32 v213, v213, v181                             // 00000000A9A0: 03AB6BD5
	v_add_f32_e32 v214, v214, v182                             // 00000000A9A4: 03AD6DD6
	v_add_f32_e32 v215, v215, v183                             // 00000000A9A8: 03AF6FD7
	v_rcp_f32_e32 v44, v48                                     // 00000000A9AC: 7E584530
	s_waitcnt lgkmcnt(0)                                       // 00000000A9B0: BF8CC07F
	s_barrier                                                  // 00000000A9B4: BF8A0000
	ds_read_b64 v[112:113], v9 offset:25088                    // 00000000A9B8: D8EC6200 70000009
	ds_read_b64 v[114:115], v9 offset:25216                    // 00000000A9C0: D8EC6280 72000009
	ds_read_b64 v[116:117], v9 offset:26112                    // 00000000A9C8: D8EC6600 74000009
	ds_read_b64 v[118:119], v9 offset:26240                    // 00000000A9D0: D8EC6680 76000009
	ds_read_b64 v[120:121], v9 offset:27136                    // 00000000A9D8: D8EC6A00 78000009
	ds_read_b64 v[122:123], v9 offset:27264                    // 00000000A9E0: D8EC6A80 7A000009
	ds_read_b64 v[124:125], v9 offset:28160                    // 00000000A9E8: D8EC6E00 7C000009
	ds_read_b64 v[126:127], v9 offset:28288                    // 00000000A9F0: D8EC6E80 7E000009
	v_mov_b32_dpp v64, v43 row_shr:4 row_mask:0xf bank_mask:0xf// 00000000A9F8: 7E8002FA FF01142B
	v_mov_b32_dpp v65, v43 row_shl:4 row_mask:0xf bank_mask:0xf// 00000000AA00: 7E8202FA FF01042B
	v_cndmask_b32_e64 v248, v43, v64, s[44:45]                 // 00000000AA08: D10000F8 00B2812B
	v_cndmask_b32_e64 v249, v65, v43, s[44:45]                 // 00000000AA10: D10000F9 00B25741
	v_mov_b32_dpp v64, v248 row_shr:8 row_mask:0xf bank_mask:0xf// 00000000AA18: 7E8002FA FF0118F8
	v_mov_b32_dpp v65, v248 row_shl:8 row_mask:0xf bank_mask:0xf// 00000000AA20: 7E8202FA FF0108F8
	v_mov_b32_dpp v66, v249 row_shr:8 row_mask:0xf bank_mask:0xf// 00000000AA28: 7E8402FA FF0118F9
	v_mov_b32_dpp v67, v249 row_shl:8 row_mask:0xf bank_mask:0xf// 00000000AA30: 7E8602FA FF0108F9
	v_mov_b32_e32 v68, v248                                    // 00000000AA38: 7E8803F8
	v_mov_b32_e32 v69, v249                                    // 00000000AA3C: 7E8A03F9
	v_cndmask_b32_e64 v248, v68, v64, s[42:43]                 // 00000000AA40: D10000F8 00AA8144
	v_cndmask_b32_e64 v250, v68, v65, s[78:79]                 // 00000000AA48: D10000FA 013A8344
	v_cndmask_b32_e64 v249, v69, v66, s[42:43]                 // 00000000AA50: D10000F9 00AA8545
	v_cndmask_b32_e64 v251, v69, v67, s[78:79]                 // 00000000AA58: D10000FB 013A8745
	v_mov_b32_dpp v64, v58 row_shr:4 row_mask:0xf bank_mask:0xf// 00000000AA60: 7E8002FA FF01143A
	v_mov_b32_dpp v65, v58 row_shl:4 row_mask:0xf bank_mask:0xf// 00000000AA68: 7E8202FA FF01043A
	v_cndmask_b32_e64 v252, v58, v64, s[44:45]                 // 00000000AA70: D10000FC 00B2813A
	v_cndmask_b32_e64 v253, v65, v58, s[44:45]                 // 00000000AA78: D10000FD 00B27541
	v_mov_b32_dpp v64, v252 row_shr:8 row_mask:0xf bank_mask:0xf// 00000000AA80: 7E8002FA FF0118FC
	v_mov_b32_dpp v65, v252 row_shl:8 row_mask:0xf bank_mask:0xf// 00000000AA88: 7E8202FA FF0108FC
	v_mov_b32_dpp v66, v253 row_shr:8 row_mask:0xf bank_mask:0xf// 00000000AA90: 7E8402FA FF0118FD
	v_mov_b32_dpp v67, v253 row_shl:8 row_mask:0xf bank_mask:0xf// 00000000AA98: 7E8602FA FF0108FD
	v_mov_b32_e32 v68, v252                                    // 00000000AAA0: 7E8803FC
	v_mov_b32_e32 v69, v253                                    // 00000000AAA4: 7E8A03FD
	v_cndmask_b32_e64 v252, v68, v64, s[42:43]                 // 00000000AAA8: D10000FC 00AA8144
	v_cndmask_b32_e64 v254, v68, v65, s[78:79]                 // 00000000AAB0: D10000FE 013A8344
	v_cndmask_b32_e64 v253, v69, v66, s[42:43]                 // 00000000AAB8: D10000FD 00AA8545
	v_cndmask_b32_e64 v255, v69, v67, s[78:79]                 // 00000000AAC0: D10000FF 013A8745
	v_mul_f32_e32 v128, v19, v128                              // 00000000AAC8: 0B010113
	v_mul_f32_e32 v129, v19, v129                              // 00000000AACC: 0B030313
	v_mul_f32_e32 v130, v19, v130                              // 00000000AAD0: 0B050513
	v_mul_f32_e32 v131, v19, v131                              // 00000000AAD4: 0B070713
	v_mul_f32_e32 v132, v19, v132                              // 00000000AAD8: 0B090913
	v_mul_f32_e32 v133, v19, v133                              // 00000000AADC: 0B0B0B13
	v_mul_f32_e32 v134, v19, v134                              // 00000000AAE0: 0B0D0D13
	v_mul_f32_e32 v135, v19, v135                              // 00000000AAE4: 0B0F0F13
	v_mul_f32_e32 v136, v19, v136                              // 00000000AAE8: 0B111113
	v_mul_f32_e32 v137, v19, v137                              // 00000000AAEC: 0B131313
	v_mul_f32_e32 v138, v19, v138                              // 00000000AAF0: 0B151513
	v_mul_f32_e32 v139, v19, v139                              // 00000000AAF4: 0B171713
	v_mul_f32_e32 v140, v19, v140                              // 00000000AAF8: 0B191913
	v_mul_f32_e32 v141, v19, v141                              // 00000000AAFC: 0B1B1B13
	v_mul_f32_e32 v142, v19, v142                              // 00000000AB00: 0B1D1D13
	v_mul_f32_e32 v143, v19, v143                              // 00000000AB04: 0B1F1F13
	v_mul_f32_dpp v128, v248, v128 quad_perm:[0,0,0,0] row_mask:0xf bank_mask:0xf// 00000000AB08: 0B0100FA FF0000F8
	v_mul_f32_dpp v129, v248, v129 quad_perm:[1,1,1,1] row_mask:0xf bank_mask:0xf// 00000000AB10: 0B0302FA FF0055F8
	v_mul_f32_dpp v130, v248, v130 quad_perm:[2,2,2,2] row_mask:0xf bank_mask:0xf// 00000000AB18: 0B0504FA FF00AAF8
	v_mul_f32_dpp v131, v248, v131 quad_perm:[3,3,3,3] row_mask:0xf bank_mask:0xf// 00000000AB20: 0B0706FA FF00FFF8
	v_mul_f32_dpp v132, v249, v132 quad_perm:[0,0,0,0] row_mask:0xf bank_mask:0xf// 00000000AB28: 0B0908FA FF0000F9
	v_mul_f32_dpp v133, v249, v133 quad_perm:[1,1,1,1] row_mask:0xf bank_mask:0xf// 00000000AB30: 0B0B0AFA FF0055F9
	v_mul_f32_dpp v134, v249, v134 quad_perm:[2,2,2,2] row_mask:0xf bank_mask:0xf// 00000000AB38: 0B0D0CFA FF00AAF9
	v_mul_f32_dpp v135, v249, v135 quad_perm:[3,3,3,3] row_mask:0xf bank_mask:0xf// 00000000AB40: 0B0F0EFA FF00FFF9
	v_mul_f32_dpp v136, v250, v136 quad_perm:[0,0,0,0] row_mask:0xf bank_mask:0xf// 00000000AB48: 0B1110FA FF0000FA
	v_mul_f32_dpp v137, v250, v137 quad_perm:[1,1,1,1] row_mask:0xf bank_mask:0xf// 00000000AB50: 0B1312FA FF0055FA
	v_mul_f32_dpp v138, v250, v138 quad_perm:[2,2,2,2] row_mask:0xf bank_mask:0xf// 00000000AB58: 0B1514FA FF00AAFA
	v_mul_f32_dpp v139, v250, v139 quad_perm:[3,3,3,3] row_mask:0xf bank_mask:0xf// 00000000AB60: 0B1716FA FF00FFFA
	v_mul_f32_dpp v140, v251, v140 quad_perm:[0,0,0,0] row_mask:0xf bank_mask:0xf// 00000000AB68: 0B1918FA FF0000FB
	v_mul_f32_dpp v141, v251, v141 quad_perm:[1,1,1,1] row_mask:0xf bank_mask:0xf// 00000000AB70: 0B1B1AFA FF0055FB
	v_mul_f32_dpp v142, v251, v142 quad_perm:[2,2,2,2] row_mask:0xf bank_mask:0xf// 00000000AB78: 0B1D1CFA FF00AAFB
	v_mul_f32_dpp v143, v251, v143 quad_perm:[3,3,3,3] row_mask:0xf bank_mask:0xf// 00000000AB80: 0B1F1EFA FF00FFFB
	v_mov_b32_e32 v48, v128                                    // 00000000AB88: 7E600380
	v_max3_f32 v48, v128, v129, v48                            // 00000000AB8C: D1D30030 04C30380
	v_max3_f32 v48, v130, v131, v48                            // 00000000AB94: D1D30030 04C30782
	v_max3_f32 v48, v132, v133, v48                            // 00000000AB9C: D1D30030 04C30B84
	v_max3_f32 v48, v134, v135, v48                            // 00000000ABA4: D1D30030 04C30F86
	v_max3_f32 v48, v136, v137, v48                            // 00000000ABAC: D1D30030 04C31388
	v_max3_f32 v48, v138, v139, v48                            // 00000000ABB4: D1D30030 04C3178A
	v_max3_f32 v48, v140, v141, v48                            // 00000000ABBC: D1D30030 04C31B8C
	v_max3_f32 v48, v142, v143, v48                            // 00000000ABC4: D1D30030 04C31F8E
	ds_write_b32 v8, v48 offset:16896                          // 00000000ABCC: D81A4200 00003008
	v_mul_f32_e32 v216, v50, v216                              // 00000000ABD4: 0BB1B132
	v_mul_f32_e32 v217, v50, v217                              // 00000000ABD8: 0BB3B332
	v_mul_f32_e32 v218, v50, v218                              // 00000000ABDC: 0BB5B532
	v_mul_f32_e32 v219, v50, v219                              // 00000000ABE0: 0BB7B732
	v_mul_f32_e32 v220, v50, v220                              // 00000000ABE4: 0BB9B932
	v_mul_f32_e32 v221, v50, v221                              // 00000000ABE8: 0BBBBB32
	v_mul_f32_e32 v222, v50, v222                              // 00000000ABEC: 0BBDBD32
	v_mul_f32_e32 v223, v50, v223                              // 00000000ABF0: 0BBFBF32
	s_waitcnt lgkmcnt(0)                                       // 00000000ABF4: BF8CC07F
	s_barrier                                                  // 00000000ABF8: BF8A0000
	ds_read_b32 v64, v7 offset:16896                           // 00000000ABFC: D86C4200 40000007
	ds_read_b32 v65, v7 offset:16960                           // 00000000AC04: D86C4240 41000007
	ds_read_b32 v66, v7 offset:17024                           // 00000000AC0C: D86C4280 42000007
	ds_read_b32 v67, v7 offset:17088                           // 00000000AC14: D86C42C0 43000007
	ds_read_b32 v68, v7 offset:17152                           // 00000000AC1C: D86C4300 44000007
	ds_read_b32 v69, v7 offset:17216                           // 00000000AC24: D86C4340 45000007
	ds_read_b32 v70, v7 offset:17280                           // 00000000AC2C: D86C4380 46000007
	ds_read_b32 v71, v7 offset:17344                           // 00000000AC34: D86C43C0 47000007
	ds_read_b32 v72, v7 offset:17408                           // 00000000AC3C: D86C4400 48000007
	ds_read_b32 v73, v7 offset:17472                           // 00000000AC44: D86C4440 49000007
	ds_read_b32 v74, v7 offset:17536                           // 00000000AC4C: D86C4480 4A000007
	ds_read_b32 v75, v7 offset:17600                           // 00000000AC54: D86C44C0 4B000007
	ds_read_b32 v76, v7 offset:17664                           // 00000000AC5C: D86C4500 4C000007
	ds_read_b32 v77, v7 offset:17728                           // 00000000AC64: D86C4540 4D000007
	ds_read_b32 v78, v7 offset:17792                           // 00000000AC6C: D86C4580 4E000007
	ds_read_b32 v79, v7 offset:17856                           // 00000000AC74: D86C45C0 4F000007
	v_mul_f32_e32 v184, v45, v184                              // 00000000AC7C: 0B71712D
	v_mul_f32_e32 v185, v45, v185                              // 00000000AC80: 0B73732D
	v_mul_f32_e32 v186, v45, v186                              // 00000000AC84: 0B75752D
	v_mul_f32_e32 v187, v45, v187                              // 00000000AC88: 0B77772D
	v_mul_f32_e32 v188, v45, v188                              // 00000000AC8C: 0B79792D
	v_mul_f32_e32 v189, v45, v189                              // 00000000AC90: 0B7B7B2D
	v_mul_f32_e32 v190, v45, v190                              // 00000000AC94: 0B7D7D2D
	v_mul_f32_e32 v191, v45, v191                              // 00000000AC98: 0B7F7F2D
	s_waitcnt lgkmcnt(0)                                       // 00000000AC9C: BF8CC07F
	v_max3_f32 v48, v64, v65, v48                              // 00000000ACA0: D1D30030 04C28340
	v_max3_f32 v48, v66, v67, v48                              // 00000000ACA8: D1D30030 04C28742
	v_max3_f32 v48, v68, v69, v48                              // 00000000ACB0: D1D30030 04C28B44
	v_max3_f32 v48, v70, v71, v48                              // 00000000ACB8: D1D30030 04C28F46
	v_max3_f32 v48, v72, v73, v48                              // 00000000ACC0: D1D30030 04C29348
	v_max3_f32 v48, v74, v75, v48                              // 00000000ACC8: D1D30030 04C2974A
	v_max3_f32 v48, v76, v77, v48                              // 00000000ACD0: D1D30030 04C29B4C
	v_max3_f32 v48, v78, v79, v48                              // 00000000ACD8: D1D30030 04C29F4E
	v_mov_b32_e32 v64, 0xff800000                              // 00000000ACE0: 7E8002FF FF800000
	v_cmp_eq_u32_e64 s[40:41], v64, v12                        // 00000000ACE8: D0CA0028 00021940
	s_nop 1                                                    // 00000000ACF0: BF800001
	v_max_f32_e32 v15, v48, v12                                // 00000000ACF4: 161E1930
	v_mul_f32_e32 v53, s64, v15                                // 00000000ACF8: 0A6A1E40
	v_fma_f32 v128, v128, s64, -v53                            // 00000000ACFC: D1CB0080 84D48180
	v_fma_f32 v129, v129, s64, -v53                            // 00000000AD04: D1CB0081 84D48181
	v_fma_f32 v130, v130, s64, -v53                            // 00000000AD0C: D1CB0082 84D48182
	v_fma_f32 v131, v131, s64, -v53                            // 00000000AD14: D1CB0083 84D48183
	v_fma_f32 v132, v132, s64, -v53                            // 00000000AD1C: D1CB0084 84D48184
	v_fma_f32 v133, v133, s64, -v53                            // 00000000AD24: D1CB0085 84D48185
	v_fma_f32 v134, v134, s64, -v53                            // 00000000AD2C: D1CB0086 84D48186
	v_fma_f32 v135, v135, s64, -v53                            // 00000000AD34: D1CB0087 84D48187
	v_fma_f32 v136, v136, s64, -v53                            // 00000000AD3C: D1CB0088 84D48188
	v_fma_f32 v137, v137, s64, -v53                            // 00000000AD44: D1CB0089 84D48189
	v_fma_f32 v138, v138, s64, -v53                            // 00000000AD4C: D1CB008A 84D4818A
	v_fma_f32 v139, v139, s64, -v53                            // 00000000AD54: D1CB008B 84D4818B
	v_fma_f32 v140, v140, s64, -v53                            // 00000000AD5C: D1CB008C 84D4818C
	v_fma_f32 v141, v141, s64, -v53                            // 00000000AD64: D1CB008D 84D4818D
	v_fma_f32 v142, v142, s64, -v53                            // 00000000AD6C: D1CB008E 84D4818E
	v_fma_f32 v143, v143, s64, -v53                            // 00000000AD74: D1CB008F 84D4818F
	v_exp_f32_e32 v128, v128                                   // 00000000AD7C: 7F004180
	v_exp_f32_e32 v129, v129                                   // 00000000AD80: 7F024181
	v_exp_f32_e32 v130, v130                                   // 00000000AD84: 7F044182
	v_exp_f32_e32 v131, v131                                   // 00000000AD88: 7F064183
	v_exp_f32_e32 v132, v132                                   // 00000000AD8C: 7F084184
	v_exp_f32_e32 v133, v133                                   // 00000000AD90: 7F0A4185
	v_exp_f32_e32 v134, v134                                   // 00000000AD94: 7F0C4186
	v_exp_f32_e32 v135, v135                                   // 00000000AD98: 7F0E4187
	v_exp_f32_e32 v136, v136                                   // 00000000AD9C: 7F104188
	v_exp_f32_e32 v137, v137                                   // 00000000ADA0: 7F124189
	v_exp_f32_e32 v138, v138                                   // 00000000ADA4: 7F14418A
	v_exp_f32_e32 v139, v139                                   // 00000000ADA8: 7F16418B
	v_exp_f32_e32 v140, v140                                   // 00000000ADAC: 7F18418C
	v_exp_f32_e32 v141, v141                                   // 00000000ADB0: 7F1A418D
	v_exp_f32_e32 v142, v142                                   // 00000000ADB4: 7F1C418E
	v_exp_f32_e32 v143, v143                                   // 00000000ADB8: 7F1E418F
	v_mul_f32_dpp v240, v252, v128 quad_perm:[0,0,0,0] row_mask:0xf bank_mask:0xf// 00000000ADBC: 0BE100FA FF0000FC
	v_mul_f32_dpp v241, v252, v129 quad_perm:[1,1,1,1] row_mask:0xf bank_mask:0xf// 00000000ADC4: 0BE302FA FF0055FC
	v_mul_f32_dpp v242, v252, v130 quad_perm:[2,2,2,2] row_mask:0xf bank_mask:0xf// 00000000ADCC: 0BE504FA FF00AAFC
	v_mul_f32_dpp v243, v252, v131 quad_perm:[3,3,3,3] row_mask:0xf bank_mask:0xf// 00000000ADD4: 0BE706FA FF00FFFC
	v_mul_f32_dpp v244, v253, v132 quad_perm:[0,0,0,0] row_mask:0xf bank_mask:0xf// 00000000ADDC: 0BE908FA FF0000FD
	v_mul_f32_dpp v245, v253, v133 quad_perm:[1,1,1,1] row_mask:0xf bank_mask:0xf// 00000000ADE4: 0BEB0AFA FF0055FD
	v_mul_f32_dpp v246, v253, v134 quad_perm:[2,2,2,2] row_mask:0xf bank_mask:0xf// 00000000ADEC: 0BED0CFA FF00AAFD
	v_mul_f32_dpp v247, v253, v135 quad_perm:[3,3,3,3] row_mask:0xf bank_mask:0xf// 00000000ADF4: 0BEF0EFA FF00FFFD
	v_mul_f32_dpp v248, v254, v136 quad_perm:[0,0,0,0] row_mask:0xf bank_mask:0xf// 00000000ADFC: 0BF110FA FF0000FE
	v_mul_f32_dpp v249, v254, v137 quad_perm:[1,1,1,1] row_mask:0xf bank_mask:0xf// 00000000AE04: 0BF312FA FF0055FE
	v_mul_f32_dpp v250, v254, v138 quad_perm:[2,2,2,2] row_mask:0xf bank_mask:0xf// 00000000AE0C: 0BF514FA FF00AAFE
	v_mul_f32_dpp v251, v254, v139 quad_perm:[3,3,3,3] row_mask:0xf bank_mask:0xf// 00000000AE14: 0BF716FA FF00FFFE
	v_mul_f32_dpp v252, v255, v140 quad_perm:[0,0,0,0] row_mask:0xf bank_mask:0xf// 00000000AE1C: 0BF918FA FF0000FF
	v_mul_f32_dpp v253, v255, v141 quad_perm:[1,1,1,1] row_mask:0xf bank_mask:0xf// 00000000AE24: 0BFB1AFA FF0055FF
	v_mul_f32_dpp v254, v255, v142 quad_perm:[2,2,2,2] row_mask:0xf bank_mask:0xf// 00000000AE2C: 0BFD1CFA FF00AAFF
	v_mul_f32_dpp v255, v255, v143 quad_perm:[3,3,3,3] row_mask:0xf bank_mask:0xf// 00000000AE34: 0BFF1EFA FF00FFFF
	v_mov_b32_e32 v48, 0x358637bd                              // 00000000AE3C: 7E6002FF 358637BD
	v_max3_f32 v48, |v240|, |v241|, v48                        // 00000000AE44: D1D30330 04C3E3F0
	v_max3_f32 v48, |v242|, |v243|, v48                        // 00000000AE4C: D1D30330 04C3E7F2
	v_max3_f32 v48, |v244|, |v245|, v48                        // 00000000AE54: D1D30330 04C3EBF4
	v_max3_f32 v48, |v246|, |v247|, v48                        // 00000000AE5C: D1D30330 04C3EFF6
	v_max3_f32 v48, |v248|, |v249|, v48                        // 00000000AE64: D1D30330 04C3F3F8
	v_max3_f32 v48, |v250|, |v251|, v48                        // 00000000AE6C: D1D30330 04C3F7FA
	v_max3_f32 v48, |v252|, |v253|, v48                        // 00000000AE74: D1D30330 04C3FBFC
	v_max3_f32 v48, |v254|, |v255|, v48                        // 00000000AE7C: D1D30330 04C3FFFE
	ds_write_b32 v8, v48 offset:20992                          // 00000000AE84: D81A5200 00003008
	v_sub_f32_e32 v50, v12, v15                                // 00000000AE8C: 04641F0C
	v_cndmask_b32_e64 v50, v50, 0, s[40:41]                    // 00000000AE90: D1000032 00A10132
	v_mov_b32_e32 v12, v15                                     // 00000000AE98: 7E18030F
	v_mul_f32_e32 v50, s64, v50                                // 00000000AE9C: 0A646440
	v_exp_f32_e32 v50, v50                                     // 00000000AEA0: 7E644132
	s_waitcnt lgkmcnt(0)                                       // 00000000AEA4: BF8CC07F
	s_barrier                                                  // 00000000AEA8: BF8A0000
	ds_read_b32 v64, v7 offset:20992                           // 00000000AEAC: D86C5200 40000007
	ds_read_b32 v65, v7 offset:21056                           // 00000000AEB4: D86C5240 41000007
	ds_read_b32 v66, v7 offset:21120                           // 00000000AEBC: D86C5280 42000007
	ds_read_b32 v67, v7 offset:21184                           // 00000000AEC4: D86C52C0 43000007
	ds_read_b32 v68, v7 offset:21248                           // 00000000AECC: D86C5300 44000007
	ds_read_b32 v69, v7 offset:21312                           // 00000000AED4: D86C5340 45000007
	ds_read_b32 v70, v7 offset:21376                           // 00000000AEDC: D86C5380 46000007
	ds_read_b32 v71, v7 offset:21440                           // 00000000AEE4: D86C53C0 47000007
	ds_read_b32 v72, v7 offset:21504                           // 00000000AEEC: D86C5400 48000007
	ds_read_b32 v73, v7 offset:21568                           // 00000000AEF4: D86C5440 49000007
	ds_read_b32 v74, v7 offset:21632                           // 00000000AEFC: D86C5480 4A000007
	ds_read_b32 v75, v7 offset:21696                           // 00000000AF04: D86C54C0 4B000007
	ds_read_b32 v76, v7 offset:21760                           // 00000000AF0C: D86C5500 4C000007
	ds_read_b32 v77, v7 offset:21824                           // 00000000AF14: D86C5540 4D000007
	ds_read_b32 v78, v7 offset:21888                           // 00000000AF1C: D86C5580 4E000007
	ds_read_b32 v79, v7 offset:21952                           // 00000000AF24: D86C55C0 4F000007
	v_mul_f32_e32 v39, v50, v39                                // 00000000AF2C: 0A4E4F32
	v_mov_b32_e32 v15, v128                                    // 00000000AF30: 7E1E0380
	v_add_f32_e32 v15, v129, v15                               // 00000000AF34: 021E1F81
	v_add_f32_e32 v15, v130, v15                               // 00000000AF38: 021E1F82
	v_add_f32_e32 v15, v131, v15                               // 00000000AF3C: 021E1F83
	v_add_f32_e32 v15, v132, v15                               // 00000000AF40: 021E1F84
	v_add_f32_e32 v15, v133, v15                               // 00000000AF44: 021E1F85
	v_add_f32_e32 v15, v134, v15                               // 00000000AF48: 021E1F86
	v_add_f32_e32 v15, v135, v15                               // 00000000AF4C: 021E1F87
	v_add_f32_e32 v15, v136, v15                               // 00000000AF50: 021E1F88
	v_add_f32_e32 v15, v137, v15                               // 00000000AF54: 021E1F89
	v_add_f32_e32 v15, v138, v15                               // 00000000AF58: 021E1F8A
	v_add_f32_e32 v15, v139, v15                               // 00000000AF5C: 021E1F8B
	v_add_f32_e32 v15, v140, v15                               // 00000000AF60: 021E1F8C
	v_add_f32_e32 v15, v141, v15                               // 00000000AF64: 021E1F8D
	v_add_f32_e32 v15, v142, v15                               // 00000000AF68: 021E1F8E
	v_add_f32_e32 v15, v143, v15                               // 00000000AF6C: 021E1F8F
	v_add_f32_e32 v39, v15, v39                                // 00000000AF70: 024E4F0F
	s_waitcnt lgkmcnt(0)                                       // 00000000AF74: BF8CC07F
	v_max3_f32 v48, |v64|, |v65|, v48                          // 00000000AF78: D1D30330 04C28340
	v_max3_f32 v48, |v66|, |v67|, v48                          // 00000000AF80: D1D30330 04C28742
	v_max3_f32 v48, |v68|, |v69|, v48                          // 00000000AF88: D1D30330 04C28B44
	v_max3_f32 v48, |v70|, |v71|, v48                          // 00000000AF90: D1D30330 04C28F46
	v_max3_f32 v48, |v72|, |v73|, v48                          // 00000000AF98: D1D30330 04C29348
	v_max3_f32 v48, |v74|, |v75|, v48                          // 00000000AFA0: D1D30330 04C2974A
	v_max3_f32 v48, |v76|, |v77|, v48                          // 00000000AFA8: D1D30330 04C29B4C
	v_max3_f32 v48, |v78|, |v79|, v48                          // 00000000AFB0: D1D30330 04C29F4E
	s_nop 2                                                    // 00000000AFB8: BF800002
	v_rcp_f32_e32 v48, v48                                     // 00000000AFBC: 7E604530
	s_nop 1                                                    // 00000000AFC0: BF800001
	v_mul_f32_e32 v48, 0x43e00000, v48                         // 00000000AFC4: 0A6060FF 43E00000
	v_mul_f32_e32 v128, v48, v240                              // 00000000AFCC: 0B01E130
	v_mul_f32_e32 v129, v48, v241                              // 00000000AFD0: 0B03E330
	v_mul_f32_e32 v130, v48, v242                              // 00000000AFD4: 0B05E530
	v_mul_f32_e32 v131, v48, v243                              // 00000000AFD8: 0B07E730
	v_mul_f32_e32 v132, v48, v244                              // 00000000AFDC: 0B09E930
	v_mul_f32_e32 v133, v48, v245                              // 00000000AFE0: 0B0BEB30
	v_mul_f32_e32 v134, v48, v246                              // 00000000AFE4: 0B0DED30
	v_mul_f32_e32 v135, v48, v247                              // 00000000AFE8: 0B0FEF30
	v_mul_f32_e32 v136, v48, v248                              // 00000000AFEC: 0B11F130
	v_mul_f32_e32 v137, v48, v249                              // 00000000AFF0: 0B13F330
	v_mul_f32_e32 v138, v48, v250                              // 00000000AFF4: 0B15F530
	v_mul_f32_e32 v139, v48, v251                              // 00000000AFF8: 0B17F730
	v_mul_f32_e32 v140, v48, v252                              // 00000000AFFC: 0B19F930
	v_mul_f32_e32 v141, v48, v253                              // 00000000B000: 0B1BFB30
	v_mul_f32_e32 v142, v48, v254                              // 00000000B004: 0B1DFD30
	v_mul_f32_e32 v143, v48, v255                              // 00000000B008: 0B1FFF30
	v_cvt_pk_fp8_f32 v128, v128, v129                          // 00000000B00C: D2A20080 00030380
	v_cvt_pk_fp8_f32 v128, v130, v131 op_sel:[0,0,1]           // 00000000B014: D2A24080 00030782
	v_cvt_pk_fp8_f32 v129, v132, v133                          // 00000000B01C: D2A20081 00030B84
	v_cvt_pk_fp8_f32 v129, v134, v135 op_sel:[0,0,1]           // 00000000B024: D2A24081 00030F86
	v_cvt_pk_fp8_f32 v130, v136, v137                          // 00000000B02C: D2A20082 00031388
	v_cvt_pk_fp8_f32 v130, v138, v139 op_sel:[0,0,1]           // 00000000B034: D2A24082 0003178A
	v_cvt_pk_fp8_f32 v131, v140, v141                          // 00000000B03C: D2A20083 00031B8C
	v_cvt_pk_fp8_f32 v131, v142, v143 op_sel:[0,0,1]           // 00000000B044: D2A24083 00031F8E
	ds_write_b32 v10, v128 offset:29184                        // 00000000B04C: D81A7200 0000800A
	ds_write_b32 v10, v129 offset:30208                        // 00000000B054: D81A7600 0000810A
	ds_write_b32 v10, v130 offset:31232                        // 00000000B05C: D81A7A00 0000820A
	ds_write_b32 v10, v131 offset:32256                        // 00000000B064: D81A7E00 0000830A
	v_add_f32_e32 v216, v216, v184                             // 00000000B06C: 03B171D8
	v_add_f32_e32 v217, v217, v185                             // 00000000B070: 03B373D9
	v_add_f32_e32 v218, v218, v186                             // 00000000B074: 03B575DA
	v_add_f32_e32 v219, v219, v187                             // 00000000B078: 03B777DB
	v_add_f32_e32 v220, v220, v188                             // 00000000B07C: 03B979DC
	v_add_f32_e32 v221, v221, v189                             // 00000000B080: 03BB7BDD
	v_add_f32_e32 v222, v222, v190                             // 00000000B084: 03BD7DDE
	v_add_f32_e32 v223, v223, v191                             // 00000000B088: 03BF7FDF
	v_rcp_f32_e32 v45, v48                                     // 00000000B08C: 7E5A4530
	s_waitcnt lgkmcnt(0)                                       // 00000000B090: BF8CC07F
	s_barrier                                                  // 00000000B094: BF8A0000
	ds_read_b64 v[128:129], v9 offset:29184                    // 00000000B098: D8EC7200 80000009
	ds_read_b64 v[130:131], v9 offset:29312                    // 00000000B0A0: D8EC7280 82000009
	ds_read_b64 v[132:133], v9 offset:30208                    // 00000000B0A8: D8EC7600 84000009
	ds_read_b64 v[134:135], v9 offset:30336                    // 00000000B0B0: D8EC7680 86000009
	ds_read_b64 v[136:137], v9 offset:31232                    // 00000000B0B8: D8EC7A00 88000009
	ds_read_b64 v[138:139], v9 offset:31360                    // 00000000B0C0: D8EC7A80 8A000009
	ds_read_b64 v[140:141], v9 offset:32256                    // 00000000B0C8: D8EC7E00 8C000009
	ds_read_b64 v[142:143], v9 offset:32384                    // 00000000B0D0: D8EC7E80 8E000009
	s_waitcnt vmcnt(15)                                        // 00000000B0D8: BF8C0F7F
	v_mfma_f32_16x16x32_fp8_fp8 v[176:179], a[96:97], v[112:113], 0// 00000000B0DC: D3F300B0 0A02E160
	buffer_load_dwordx4 a[80:83], v30, s[20:23], 0 offen offset:1024// 00000000B0E4: E05C1400 8085501E
	v_mfma_f32_16x16x32_fp8_fp8 v[176:179], a[98:99], v[114:115], v[176:179]// 00000000B0EC: D3F300B0 0EC2E562
	v_mfma_f32_16x16x32_fp8_fp8 v[176:179], a[100:101], v[116:117], v[176:179]// 00000000B0F4: D3F300B0 0EC2E964
	v_mfma_f32_16x16x32_fp8_fp8 v[176:179], a[102:103], v[118:119], v[176:179]// 00000000B0FC: D3F300B0 0EC2ED66
	v_mfma_f32_16x16x32_fp8_fp8 v[176:179], a[104:105], v[120:121], v[176:179]// 00000000B104: D3F300B0 0EC2F168
	buffer_load_dwordx4 a[84:87], v31, s[20:23], 0 offen offset:1024// 00000000B10C: E05C1400 8085541F
	v_mfma_f32_16x16x32_fp8_fp8 v[176:179], a[106:107], v[122:123], v[176:179]// 00000000B114: D3F300B0 0EC2F56A
	v_mfma_f32_16x16x32_fp8_fp8 v[176:179], a[108:109], v[124:125], v[176:179]// 00000000B11C: D3F300B0 0EC2F96C
	v_mfma_f32_16x16x32_fp8_fp8 v[176:179], a[110:111], v[126:127], v[176:179]// 00000000B124: D3F300B0 0EC2FD6E
	v_mfma_f32_16x16x32_fp8_fp8 v[180:183], a[112:113], v[112:113], 0// 00000000B12C: D3F300B4 0A02E170
	buffer_load_dwordx4 a[88:91], v32, s[20:23], 0 offen offset:1024// 00000000B134: E05C1400 80855820
	v_mfma_f32_16x16x32_fp8_fp8 v[180:183], a[114:115], v[114:115], v[180:183]// 00000000B13C: D3F300B4 0ED2E572
	v_mfma_f32_16x16x32_fp8_fp8 v[180:183], a[116:117], v[116:117], v[180:183]// 00000000B144: D3F300B4 0ED2E974
	v_mfma_f32_16x16x32_fp8_fp8 v[180:183], a[118:119], v[118:119], v[180:183]// 00000000B14C: D3F300B4 0ED2ED76
	v_mfma_f32_16x16x32_fp8_fp8 v[180:183], a[120:121], v[120:121], v[180:183]// 00000000B154: D3F300B4 0ED2F178
	buffer_load_dwordx4 a[92:95], v33, s[20:23], 0 offen offset:1024// 00000000B15C: E05C1400 80855C21
	v_mfma_f32_16x16x32_fp8_fp8 v[180:183], a[122:123], v[122:123], v[180:183]// 00000000B164: D3F300B4 0ED2F57A
	v_mfma_f32_16x16x32_fp8_fp8 v[180:183], a[124:125], v[124:125], v[180:183]// 00000000B16C: D3F300B4 0ED2F97C
	s_lshr_b32 s57, s70, 4                                     // 00000000B174: 8F398446
	s_add_u32 s57, 48, s57                                     // 00000000B178: 803939B0
	v_mfma_f32_16x16x32_fp8_fp8 v[180:183], a[126:127], v[126:127], v[180:183]// 00000000B17C: D3F300B4 0ED2FD7E
	s_cmp_ge_u32 s57, s73                                      // 00000000B184: BF094939
	s_cselect_b32 s56, 0, s56                                  // 00000000B188: 85383880
	v_mfma_f32_16x16x32_fp8_fp8 v[184:187], a[96:97], v[128:129], 0// 00000000B18C: D3F300B8 0A030160
	v_mfma_f32_16x16x32_fp8_fp8 v[184:187], a[98:99], v[130:131], v[184:187]// 00000000B194: D3F300B8 0EE30562
	v_mfma_f32_16x16x32_fp8_fp8 v[184:187], a[100:101], v[132:133], v[184:187]// 00000000B19C: D3F300B8 0EE30964
	v_mfma_f32_16x16x32_fp8_fp8 v[184:187], a[102:103], v[134:135], v[184:187]// 00000000B1A4: D3F300B8 0EE30D66
	v_mfma_f32_16x16x32_fp8_fp8 v[184:187], a[104:105], v[136:137], v[184:187]// 00000000B1AC: D3F300B8 0EE31168
	v_mfma_f32_16x16x32_fp8_fp8 v[184:187], a[106:107], v[138:139], v[184:187]// 00000000B1B4: D3F300B8 0EE3156A
	v_mfma_f32_16x16x32_fp8_fp8 v[184:187], a[108:109], v[140:141], v[184:187]// 00000000B1BC: D3F300B8 0EE3196C
	v_mfma_f32_16x16x32_fp8_fp8 v[184:187], a[110:111], v[142:143], v[184:187]// 00000000B1C4: D3F300B8 0EE31D6E
	v_mfma_f32_16x16x32_fp8_fp8 v[188:191], a[112:113], v[128:129], 0// 00000000B1CC: D3F300BC 0A030170
	v_mfma_f32_16x16x32_fp8_fp8 v[188:191], a[114:115], v[130:131], v[188:191]// 00000000B1D4: D3F300BC 0EF30572
	v_mfma_f32_16x16x32_fp8_fp8 v[188:191], a[116:117], v[132:133], v[188:191]// 00000000B1DC: D3F300BC 0EF30974
	v_mfma_f32_16x16x32_fp8_fp8 v[188:191], a[118:119], v[134:135], v[188:191]// 00000000B1E4: D3F300BC 0EF30D76
	v_mfma_f32_16x16x32_fp8_fp8 v[188:191], a[120:121], v[136:137], v[188:191]// 00000000B1EC: D3F300BC 0EF31178
	v_mfma_f32_16x16x32_fp8_fp8 v[188:191], a[122:123], v[138:139], v[188:191]// 00000000B1F4: D3F300BC 0EF3157A
	v_mfma_f32_16x16x32_fp8_fp8 v[188:191], a[124:125], v[140:141], v[188:191]// 00000000B1FC: D3F300BC 0EF3197C
	v_mfma_f32_16x16x32_fp8_fp8 v[188:191], a[126:127], v[142:143], v[188:191]// 00000000B204: D3F300BC 0EF31D7E
	v_add_u32_e32 v1, s56, v1                                  // 00000000B20C: 68020238
	s_addk_i32 s70, 0x100                                      // 00000000B210: B7460100
	s_cmp_lt_i32 s70, s71                                      // 00000000B214: BF044746
	s_cbranch_scc0 label_1B88                                  // 00000000B218: BF84F781
	s_branch label_1B8B                                        // 00000000B21C: BF82F783

000000000000b220 <label_2408>:
	s_lshr_b32 s60, s71, 4                                     // 00000000B220: 8F3C8447
	s_cmp_eq_i32 s60, s73                                      // 00000000B224: BF00493C
	s_cbranch_scc1 label_2DC3                                  // 00000000B228: BF8509B8
	s_lshr_b32 s60, s71, 8                                     // 00000000B22C: 8F3C8847
	s_and_b32 s60, s60, 1                                      // 00000000B230: 863C813C
	s_cmp_eq_i32 s60, 1                                        // 00000000B234: BF00813C
	s_cbranch_scc1 label_28E9                                  // 00000000B238: BF8504DA
	s_waitcnt vmcnt(8) lgkmcnt(0)                              // 00000000B23C: BF8C0078
	s_barrier                                                  // 00000000B240: BF8A0000
	v_mfma_f32_16x16x32_fp8_fp8 v[112:115], a[0:1], v[80:81], 0// 00000000B244: D3F30070 0A02A100
	v_mfma_f32_16x16x32_fp8_fp8 v[112:115], a[2:3], v[82:83], v[112:115]// 00000000B24C: D3F30070 0DC2A502
	v_mfma_f32_16x16x32_fp8_fp8 v[112:115], a[4:5], v[84:85], v[112:115]// 00000000B254: D3F30070 0DC2A904
	v_mfma_f32_16x16x32_fp8_fp8 v[112:115], a[6:7], v[86:87], v[112:115]// 00000000B25C: D3F30070 0DC2AD06
	v_mfma_f32_16x16x32_fp8_fp8 v[116:119], a[8:9], v[80:81], 0// 00000000B264: D3F30074 0A02A108
	v_mfma_f32_16x16x32_fp8_fp8 v[116:119], a[10:11], v[82:83], v[116:119]// 00000000B26C: D3F30074 0DD2A50A
	v_mfma_f32_16x16x32_fp8_fp8 v[116:119], a[12:13], v[84:85], v[116:119]// 00000000B274: D3F30074 0DD2A90C
	v_mfma_f32_16x16x32_fp8_fp8 v[116:119], a[14:15], v[86:87], v[116:119]// 00000000B27C: D3F30074 0DD2AD0E
	v_mfma_f32_16x16x32_fp8_fp8 v[120:123], a[16:17], v[80:81], 0// 00000000B284: D3F30078 0A02A110
	v_mfma_f32_16x16x32_fp8_fp8 v[120:123], a[18:19], v[82:83], v[120:123]// 00000000B28C: D3F30078 0DE2A512
	v_mfma_f32_16x16x32_fp8_fp8 v[120:123], a[20:21], v[84:85], v[120:123]// 00000000B294: D3F30078 0DE2A914
	v_mfma_f32_16x16x32_fp8_fp8 v[120:123], a[22:23], v[86:87], v[120:123]// 00000000B29C: D3F30078 0DE2AD16
	v_mfma_f32_16x16x32_fp8_fp8 v[124:127], a[24:25], v[80:81], 0// 00000000B2A4: D3F3007C 0A02A118
	v_mfma_f32_16x16x32_fp8_fp8 v[124:127], a[26:27], v[82:83], v[124:127]// 00000000B2AC: D3F3007C 0DF2A51A
	v_mfma_f32_16x16x32_fp8_fp8 v[124:127], a[28:29], v[84:85], v[124:127]// 00000000B2B4: D3F3007C 0DF2A91C
	v_mfma_f32_16x16x32_fp8_fp8 v[124:127], a[30:31], v[86:87], v[124:127]// 00000000B2BC: D3F3007C 0DF2AD1E
	v_mfma_f32_16x16x32_fp8_fp8 v[128:131], a[0:1], v[88:89], 0// 00000000B2C4: D3F30080 0A02B100
	v_mfma_f32_16x16x32_fp8_fp8 v[128:131], a[2:3], v[90:91], v[128:131]// 00000000B2CC: D3F30080 0E02B502
	v_mfma_f32_16x16x32_fp8_fp8 v[128:131], a[4:5], v[92:93], v[128:131]// 00000000B2D4: D3F30080 0E02B904
	v_mfma_f32_16x16x32_fp8_fp8 v[128:131], a[6:7], v[94:95], v[128:131]// 00000000B2DC: D3F30080 0E02BD06
	v_mfma_f32_16x16x32_fp8_fp8 v[132:135], a[8:9], v[88:89], 0// 00000000B2E4: D3F30084 0A02B108
	v_mfma_f32_16x16x32_fp8_fp8 v[132:135], a[10:11], v[90:91], v[132:135]// 00000000B2EC: D3F30084 0E12B50A
	v_mfma_f32_16x16x32_fp8_fp8 v[132:135], a[12:13], v[92:93], v[132:135]// 00000000B2F4: D3F30084 0E12B90C
	v_mfma_f32_16x16x32_fp8_fp8 v[132:135], a[14:15], v[94:95], v[132:135]// 00000000B2FC: D3F30084 0E12BD0E
	v_mfma_f32_16x16x32_fp8_fp8 v[136:139], a[16:17], v[88:89], 0// 00000000B304: D3F30088 0A02B110
	v_mfma_f32_16x16x32_fp8_fp8 v[136:139], a[18:19], v[90:91], v[136:139]// 00000000B30C: D3F30088 0E22B512
	v_mfma_f32_16x16x32_fp8_fp8 v[136:139], a[20:21], v[92:93], v[136:139]// 00000000B314: D3F30088 0E22B914
	v_mfma_f32_16x16x32_fp8_fp8 v[136:139], a[22:23], v[94:95], v[136:139]// 00000000B31C: D3F30088 0E22BD16
	v_mfma_f32_16x16x32_fp8_fp8 v[140:143], a[24:25], v[88:89], 0// 00000000B324: D3F3008C 0A02B118
	v_mfma_f32_16x16x32_fp8_fp8 v[140:143], a[26:27], v[90:91], v[140:143]// 00000000B32C: D3F3008C 0E32B51A
	v_mfma_f32_16x16x32_fp8_fp8 v[140:143], a[28:29], v[92:93], v[140:143]// 00000000B334: D3F3008C 0E32B91C
	v_mfma_f32_16x16x32_fp8_fp8 v[140:143], a[30:31], v[94:95], v[140:143]// 00000000B33C: D3F3008C 0E32BD1E
	v_mov_b32_dpp v64, v42 row_shr:4 row_mask:0xf bank_mask:0xf// 00000000B344: 7E8002FA FF01142A
	v_mov_b32_dpp v65, v42 row_shl:4 row_mask:0xf bank_mask:0xf// 00000000B34C: 7E8202FA FF01042A
	v_cndmask_b32_e64 v248, v42, v64, s[44:45]                 // 00000000B354: D10000F8 00B2812A
	v_cndmask_b32_e64 v249, v65, v42, s[44:45]                 // 00000000B35C: D10000F9 00B25541
	v_mov_b32_dpp v64, v248 row_shr:8 row_mask:0xf bank_mask:0xf// 00000000B364: 7E8002FA FF0118F8
	v_mov_b32_dpp v65, v248 row_shl:8 row_mask:0xf bank_mask:0xf// 00000000B36C: 7E8202FA FF0108F8
	v_mov_b32_dpp v66, v249 row_shr:8 row_mask:0xf bank_mask:0xf// 00000000B374: 7E8402FA FF0118F9
	v_mov_b32_dpp v67, v249 row_shl:8 row_mask:0xf bank_mask:0xf// 00000000B37C: 7E8602FA FF0108F9
	v_mov_b32_e32 v68, v248                                    // 00000000B384: 7E8803F8
	v_mov_b32_e32 v69, v249                                    // 00000000B388: 7E8A03F9
	v_cndmask_b32_e64 v248, v68, v64, s[42:43]                 // 00000000B38C: D10000F8 00AA8144
	v_cndmask_b32_e64 v250, v68, v65, s[78:79]                 // 00000000B394: D10000FA 013A8344
	v_cndmask_b32_e64 v249, v69, v66, s[42:43]                 // 00000000B39C: D10000F9 00AA8545
	v_cndmask_b32_e64 v251, v69, v67, s[78:79]                 // 00000000B3A4: D10000FB 013A8745
	v_mov_b32_dpp v64, v57 row_shr:4 row_mask:0xf bank_mask:0xf// 00000000B3AC: 7E8002FA FF011439
	v_mov_b32_dpp v65, v57 row_shl:4 row_mask:0xf bank_mask:0xf// 00000000B3B4: 7E8202FA FF010439
	v_cndmask_b32_e64 v252, v57, v64, s[44:45]                 // 00000000B3BC: D10000FC 00B28139
	v_cndmask_b32_e64 v253, v65, v57, s[44:45]                 // 00000000B3C4: D10000FD 00B27341
	v_mov_b32_dpp v64, v252 row_shr:8 row_mask:0xf bank_mask:0xf// 00000000B3CC: 7E8002FA FF0118FC
	v_mov_b32_dpp v65, v252 row_shl:8 row_mask:0xf bank_mask:0xf// 00000000B3D4: 7E8202FA FF0108FC
	v_mov_b32_dpp v66, v253 row_shr:8 row_mask:0xf bank_mask:0xf// 00000000B3DC: 7E8402FA FF0118FD
	v_mov_b32_dpp v67, v253 row_shl:8 row_mask:0xf bank_mask:0xf// 00000000B3E4: 7E8602FA FF0108FD
	v_mov_b32_e32 v68, v252                                    // 00000000B3EC: 7E8803FC
	v_mov_b32_e32 v69, v253                                    // 00000000B3F0: 7E8A03FD
	v_cndmask_b32_e64 v252, v68, v64, s[42:43]                 // 00000000B3F4: D10000FC 00AA8144
	v_cndmask_b32_e64 v254, v68, v65, s[78:79]                 // 00000000B3FC: D10000FE 013A8344
	v_cndmask_b32_e64 v253, v69, v66, s[42:43]                 // 00000000B404: D10000FD 00AA8545
	v_cndmask_b32_e64 v255, v69, v67, s[78:79]                 // 00000000B40C: D10000FF 013A8745
	v_mul_f32_e32 v112, v18, v112                              // 00000000B414: 0AE0E112
	v_mul_f32_e32 v113, v18, v113                              // 00000000B418: 0AE2E312
	v_mul_f32_e32 v114, v18, v114                              // 00000000B41C: 0AE4E512
	v_mul_f32_e32 v115, v18, v115                              // 00000000B420: 0AE6E712
	v_mul_f32_e32 v116, v18, v116                              // 00000000B424: 0AE8E912
	v_mul_f32_e32 v117, v18, v117                              // 00000000B428: 0AEAEB12
	v_mul_f32_e32 v118, v18, v118                              // 00000000B42C: 0AECED12
	v_mul_f32_e32 v119, v18, v119                              // 00000000B430: 0AEEEF12
	v_mul_f32_e32 v120, v18, v120                              // 00000000B434: 0AF0F112
	v_mul_f32_e32 v121, v18, v121                              // 00000000B438: 0AF2F312
	v_mul_f32_e32 v122, v18, v122                              // 00000000B43C: 0AF4F512
	v_mul_f32_e32 v123, v18, v123                              // 00000000B440: 0AF6F712
	v_mul_f32_e32 v124, v18, v124                              // 00000000B444: 0AF8F912
	v_mul_f32_e32 v125, v18, v125                              // 00000000B448: 0AFAFB12
	v_mul_f32_e32 v126, v18, v126                              // 00000000B44C: 0AFCFD12
	v_mul_f32_e32 v127, v18, v127                              // 00000000B450: 0AFEFF12
	v_mul_f32_dpp v112, v248, v112 quad_perm:[0,0,0,0] row_mask:0xf bank_mask:0xf// 00000000B454: 0AE0E0FA FF0000F8
	v_mul_f32_dpp v113, v248, v113 quad_perm:[1,1,1,1] row_mask:0xf bank_mask:0xf// 00000000B45C: 0AE2E2FA FF0055F8
	v_mul_f32_dpp v114, v248, v114 quad_perm:[2,2,2,2] row_mask:0xf bank_mask:0xf// 00000000B464: 0AE4E4FA FF00AAF8
	v_mul_f32_dpp v115, v248, v115 quad_perm:[3,3,3,3] row_mask:0xf bank_mask:0xf// 00000000B46C: 0AE6E6FA FF00FFF8
	v_mul_f32_dpp v116, v249, v116 quad_perm:[0,0,0,0] row_mask:0xf bank_mask:0xf// 00000000B474: 0AE8E8FA FF0000F9
	v_mul_f32_dpp v117, v249, v117 quad_perm:[1,1,1,1] row_mask:0xf bank_mask:0xf// 00000000B47C: 0AEAEAFA FF0055F9
	v_mul_f32_dpp v118, v249, v118 quad_perm:[2,2,2,2] row_mask:0xf bank_mask:0xf// 00000000B484: 0AECECFA FF00AAF9
	v_mul_f32_dpp v119, v249, v119 quad_perm:[3,3,3,3] row_mask:0xf bank_mask:0xf// 00000000B48C: 0AEEEEFA FF00FFF9
	v_mul_f32_dpp v120, v250, v120 quad_perm:[0,0,0,0] row_mask:0xf bank_mask:0xf// 00000000B494: 0AF0F0FA FF0000FA
	v_mul_f32_dpp v121, v250, v121 quad_perm:[1,1,1,1] row_mask:0xf bank_mask:0xf// 00000000B49C: 0AF2F2FA FF0055FA
	v_mul_f32_dpp v122, v250, v122 quad_perm:[2,2,2,2] row_mask:0xf bank_mask:0xf// 00000000B4A4: 0AF4F4FA FF00AAFA
	v_mul_f32_dpp v123, v250, v123 quad_perm:[3,3,3,3] row_mask:0xf bank_mask:0xf// 00000000B4AC: 0AF6F6FA FF00FFFA
	v_mul_f32_dpp v124, v251, v124 quad_perm:[0,0,0,0] row_mask:0xf bank_mask:0xf// 00000000B4B4: 0AF8F8FA FF0000FB
	v_mul_f32_dpp v125, v251, v125 quad_perm:[1,1,1,1] row_mask:0xf bank_mask:0xf// 00000000B4BC: 0AFAFAFA FF0055FB
	v_mul_f32_dpp v126, v251, v126 quad_perm:[2,2,2,2] row_mask:0xf bank_mask:0xf// 00000000B4C4: 0AFCFCFA FF00AAFB
	v_mul_f32_dpp v127, v251, v127 quad_perm:[3,3,3,3] row_mask:0xf bank_mask:0xf// 00000000B4CC: 0AFEFEFA FF00FFFB
	s_and_b32 s60, s72, 0xff                                   // 00000000B4D4: 863CFF48 000000FF
	v_mov_b32_e32 v65, s60                                     // 00000000B4DC: 7E82023C
	v_lshrrev_b32_e32 v240, 4, v0                              // 00000000B4E0: 21E00084
	v_mul_i32_i24_e32 v240, 4, v240                            // 00000000B4E4: 0DE1E084
	s_mul_i32 s60, s7, 16                                      // 00000000B4E8: 923C9007
	v_add_u32_e32 v240, s60, v240                              // 00000000B4EC: 69E1E03C
	v_add_u32_e32 v241, 1, v240                                // 00000000B4F0: 69E3E081
	v_add_u32_e32 v242, 2, v240                                // 00000000B4F4: 69E5E082
	v_add_u32_e32 v243, 3, v240                                // 00000000B4F8: 69E7E083
	v_mov_b32_e32 v64, 0xff800000                              // 00000000B4FC: 7E8002FF FF800000
	v_cmp_lt_u32_e64 s[40:41], v240, v65                       // 00000000B504: D0C90028 000283F0
	v_add_u32_e32 v240, 64, v240                               // 00000000B50C: 69E1E0C0
	s_nop 0                                                    // 00000000B510: BF800000
	v_cndmask_b32_e64 v112, v64, v112, s[40:41]                // 00000000B514: D1000070 00A2E140
	v_cmp_lt_u32_e64 s[40:41], v241, v65                       // 00000000B51C: D0C90028 000283F1
	v_add_u32_e32 v241, 64, v241                               // 00000000B524: 69E3E2C0
	s_nop 0                                                    // 00000000B528: BF800000
	v_cndmask_b32_e64 v113, v64, v113, s[40:41]                // 00000000B52C: D1000071 00A2E340
	v_cmp_lt_u32_e64 s[40:41], v242, v65                       // 00000000B534: D0C90028 000283F2
	v_add_u32_e32 v242, 64, v242                               // 00000000B53C: 69E5E4C0
	s_nop 0                                                    // 00000000B540: BF800000
	v_cndmask_b32_e64 v114, v64, v114, s[40:41]                // 00000000B544: D1000072 00A2E540
	v_cmp_lt_u32_e64 s[40:41], v243, v65                       // 00000000B54C: D0C90028 000283F3
	v_add_u32_e32 v243, 64, v243                               // 00000000B554: 69E7E6C0
	s_nop 0                                                    // 00000000B558: BF800000
	v_cndmask_b32_e64 v115, v64, v115, s[40:41]                // 00000000B55C: D1000073 00A2E740
	v_cmp_lt_u32_e64 s[40:41], v240, v65                       // 00000000B564: D0C90028 000283F0
	v_add_u32_e32 v240, 64, v240                               // 00000000B56C: 69E1E0C0
	s_nop 0                                                    // 00000000B570: BF800000
	v_cndmask_b32_e64 v116, v64, v116, s[40:41]                // 00000000B574: D1000074 00A2E940
	v_cmp_lt_u32_e64 s[40:41], v241, v65                       // 00000000B57C: D0C90028 000283F1
	v_add_u32_e32 v241, 64, v241                               // 00000000B584: 69E3E2C0
	s_nop 0                                                    // 00000000B588: BF800000
	v_cndmask_b32_e64 v117, v64, v117, s[40:41]                // 00000000B58C: D1000075 00A2EB40
	v_cmp_lt_u32_e64 s[40:41], v242, v65                       // 00000000B594: D0C90028 000283F2
	v_add_u32_e32 v242, 64, v242                               // 00000000B59C: 69E5E4C0
	s_nop 0                                                    // 00000000B5A0: BF800000
	v_cndmask_b32_e64 v118, v64, v118, s[40:41]                // 00000000B5A4: D1000076 00A2ED40
	v_cmp_lt_u32_e64 s[40:41], v243, v65                       // 00000000B5AC: D0C90028 000283F3
	v_add_u32_e32 v243, 64, v243                               // 00000000B5B4: 69E7E6C0
	s_nop 0                                                    // 00000000B5B8: BF800000
	v_cndmask_b32_e64 v119, v64, v119, s[40:41]                // 00000000B5BC: D1000077 00A2EF40
	v_cmp_lt_u32_e64 s[40:41], v240, v65                       // 00000000B5C4: D0C90028 000283F0
	v_add_u32_e32 v240, 64, v240                               // 00000000B5CC: 69E1E0C0
	s_nop 0                                                    // 00000000B5D0: BF800000
	v_cndmask_b32_e64 v120, v64, v120, s[40:41]                // 00000000B5D4: D1000078 00A2F140
	v_cmp_lt_u32_e64 s[40:41], v241, v65                       // 00000000B5DC: D0C90028 000283F1
	v_add_u32_e32 v241, 64, v241                               // 00000000B5E4: 69E3E2C0
	s_nop 0                                                    // 00000000B5E8: BF800000
	v_cndmask_b32_e64 v121, v64, v121, s[40:41]                // 00000000B5EC: D1000079 00A2F340
	v_cmp_lt_u32_e64 s[40:41], v242, v65                       // 00000000B5F4: D0C90028 000283F2
	v_add_u32_e32 v242, 64, v242                               // 00000000B5FC: 69E5E4C0
	s_nop 0                                                    // 00000000B600: BF800000
	v_cndmask_b32_e64 v122, v64, v122, s[40:41]                // 00000000B604: D100007A 00A2F540
	v_cmp_lt_u32_e64 s[40:41], v243, v65                       // 00000000B60C: D0C90028 000283F3
	v_add_u32_e32 v243, 64, v243                               // 00000000B614: 69E7E6C0
	s_nop 0                                                    // 00000000B618: BF800000
	v_cndmask_b32_e64 v123, v64, v123, s[40:41]                // 00000000B61C: D100007B 00A2F740
	v_cmp_lt_u32_e64 s[40:41], v240, v65                       // 00000000B624: D0C90028 000283F0
	v_add_u32_e32 v240, 64, v240                               // 00000000B62C: 69E1E0C0
	s_nop 0                                                    // 00000000B630: BF800000
	v_cndmask_b32_e64 v124, v64, v124, s[40:41]                // 00000000B634: D100007C 00A2F940
	v_cmp_lt_u32_e64 s[40:41], v241, v65                       // 00000000B63C: D0C90028 000283F1
	v_add_u32_e32 v241, 64, v241                               // 00000000B644: 69E3E2C0
	s_nop 0                                                    // 00000000B648: BF800000
	v_cndmask_b32_e64 v125, v64, v125, s[40:41]                // 00000000B64C: D100007D 00A2FB40
	v_cmp_lt_u32_e64 s[40:41], v242, v65                       // 00000000B654: D0C90028 000283F2
	v_add_u32_e32 v242, 64, v242                               // 00000000B65C: 69E5E4C0
	s_nop 0                                                    // 00000000B660: BF800000
	v_cndmask_b32_e64 v126, v64, v126, s[40:41]                // 00000000B664: D100007E 00A2FD40
	v_cmp_lt_u32_e64 s[40:41], v243, v65                       // 00000000B66C: D0C90028 000283F3
	v_add_u32_e32 v243, 64, v243                               // 00000000B674: 69E7E6C0
	s_nop 0                                                    // 00000000B678: BF800000
	v_cndmask_b32_e64 v127, v64, v127, s[40:41]                // 00000000B67C: D100007F 00A2FF40
	v_mov_b32_e32 v48, v112                                    // 00000000B684: 7E600370
	v_max3_f32 v48, v112, v113, v48                            // 00000000B688: D1D30030 04C2E370
	v_max3_f32 v48, v114, v115, v48                            // 00000000B690: D1D30030 04C2E772
	v_max3_f32 v48, v116, v117, v48                            // 00000000B698: D1D30030 04C2EB74
	v_max3_f32 v48, v118, v119, v48                            // 00000000B6A0: D1D30030 04C2EF76
	v_max3_f32 v48, v120, v121, v48                            // 00000000B6A8: D1D30030 04C2F378
	v_max3_f32 v48, v122, v123, v48                            // 00000000B6B0: D1D30030 04C2F77A
	v_max3_f32 v48, v124, v125, v48                            // 00000000B6B8: D1D30030 04C2FB7C
	v_max3_f32 v48, v126, v127, v48                            // 00000000B6C0: D1D30030 04C2FF7E
	ds_write_b32 v8, v48 offset:16896                          // 00000000B6C8: D81A4200 00003008
	v_mul_u32_u24_dpp v64, v17, v54 row_newbcast:1 row_mask:0xf bank_mask:0xf// 00000000B6D0: 10806CFA FF015111
	v_mul_u32_u24_dpp v65, v17, v54 row_newbcast:5 row_mask:0xf bank_mask:0xf// 00000000B6D8: 10826CFA FF015511
	v_mul_u32_u24_dpp v66, v17, v54 row_newbcast:9 row_mask:0xf bank_mask:0xf// 00000000B6E0: 10846CFA FF015911
	v_mul_u32_u24_dpp v67, v17, v54 row_newbcast:13 row_mask:0xf bank_mask:0xf// 00000000B6E8: 10866CFA FF015D11
	v_add_u32_e32 v34, v64, v6                                 // 00000000B6F0: 68440D40
	v_add_u32_e32 v35, v65, v6                                 // 00000000B6F4: 68460D41
	v_add_u32_e32 v36, v66, v6                                 // 00000000B6F8: 68480D42
	v_add_u32_e32 v37, v67, v6                                 // 00000000B6FC: 684A0D43
	v_mul_f32_e32 v208, v49, v208                              // 00000000B700: 0BA1A131
	v_mul_f32_e32 v209, v49, v209                              // 00000000B704: 0BA3A331
	v_mul_f32_e32 v210, v49, v210                              // 00000000B708: 0BA5A531
	v_mul_f32_e32 v211, v49, v211                              // 00000000B70C: 0BA7A731
	v_mul_f32_e32 v212, v49, v212                              // 00000000B710: 0BA9A931
	v_mul_f32_e32 v213, v49, v213                              // 00000000B714: 0BABAB31
	v_mul_f32_e32 v214, v49, v214                              // 00000000B718: 0BADAD31
	v_mul_f32_e32 v215, v49, v215                              // 00000000B71C: 0BAFAF31
	s_waitcnt lgkmcnt(0)                                       // 00000000B720: BF8CC07F
	s_barrier                                                  // 00000000B724: BF8A0000
	ds_read_b32 v64, v7 offset:16896                           // 00000000B728: D86C4200 40000007
	ds_read_b32 v65, v7 offset:16960                           // 00000000B730: D86C4240 41000007
	ds_read_b32 v66, v7 offset:17024                           // 00000000B738: D86C4280 42000007
	ds_read_b32 v67, v7 offset:17088                           // 00000000B740: D86C42C0 43000007
	ds_read_b32 v68, v7 offset:17152                           // 00000000B748: D86C4300 44000007
	ds_read_b32 v69, v7 offset:17216                           // 00000000B750: D86C4340 45000007
	ds_read_b32 v70, v7 offset:17280                           // 00000000B758: D86C4380 46000007
	ds_read_b32 v71, v7 offset:17344                           // 00000000B760: D86C43C0 47000007
	ds_read_b32 v72, v7 offset:17408                           // 00000000B768: D86C4400 48000007
	ds_read_b32 v73, v7 offset:17472                           // 00000000B770: D86C4440 49000007
	ds_read_b32 v74, v7 offset:17536                           // 00000000B778: D86C4480 4A000007
	ds_read_b32 v75, v7 offset:17600                           // 00000000B780: D86C44C0 4B000007
	ds_read_b32 v76, v7 offset:17664                           // 00000000B788: D86C4500 4C000007
	ds_read_b32 v77, v7 offset:17728                           // 00000000B790: D86C4540 4D000007
	ds_read_b32 v78, v7 offset:17792                           // 00000000B798: D86C4580 4E000007
	ds_read_b32 v79, v7 offset:17856                           // 00000000B7A0: D86C45C0 4F000007
	v_mul_f32_e32 v176, v44, v176                              // 00000000B7A8: 0B61612C
	v_mul_f32_e32 v177, v44, v177                              // 00000000B7AC: 0B63632C
	v_mul_f32_e32 v178, v44, v178                              // 00000000B7B0: 0B65652C
	v_mul_f32_e32 v179, v44, v179                              // 00000000B7B4: 0B67672C
	v_mul_f32_e32 v180, v44, v180                              // 00000000B7B8: 0B69692C
	v_mul_f32_e32 v181, v44, v181                              // 00000000B7BC: 0B6B6B2C
	v_mul_f32_e32 v182, v44, v182                              // 00000000B7C0: 0B6D6D2C
	v_mul_f32_e32 v183, v44, v183                              // 00000000B7C4: 0B6F6F2C
	s_waitcnt lgkmcnt(0)                                       // 00000000B7C8: BF8CC07F
	v_max3_f32 v48, v64, v65, v48                              // 00000000B7CC: D1D30030 04C28340
	v_max3_f32 v48, v66, v67, v48                              // 00000000B7D4: D1D30030 04C28742
	v_max3_f32 v48, v68, v69, v48                              // 00000000B7DC: D1D30030 04C28B44
	v_max3_f32 v48, v70, v71, v48                              // 00000000B7E4: D1D30030 04C28F46
	v_max3_f32 v48, v72, v73, v48                              // 00000000B7EC: D1D30030 04C29348
	v_max3_f32 v48, v74, v75, v48                              // 00000000B7F4: D1D30030 04C2974A
	v_max3_f32 v48, v76, v77, v48                              // 00000000B7FC: D1D30030 04C29B4C
	v_max3_f32 v48, v78, v79, v48                              // 00000000B804: D1D30030 04C29F4E
	v_mov_b32_e32 v64, 0xff800000                              // 00000000B80C: 7E8002FF FF800000
	v_cmp_eq_u32_e64 s[40:41], v64, v11                        // 00000000B814: D0CA0028 00021740
	s_nop 1                                                    // 00000000B81C: BF800001
	v_max_f32_e32 v15, v48, v11                                // 00000000B820: 161E1730
	v_mul_f32_e32 v53, s64, v15                                // 00000000B824: 0A6A1E40
	v_fma_f32 v112, v112, s64, -v53                            // 00000000B828: D1CB0070 84D48170
	v_fma_f32 v113, v113, s64, -v53                            // 00000000B830: D1CB0071 84D48171
	v_fma_f32 v114, v114, s64, -v53                            // 00000000B838: D1CB0072 84D48172
	v_fma_f32 v115, v115, s64, -v53                            // 00000000B840: D1CB0073 84D48173
	v_fma_f32 v116, v116, s64, -v53                            // 00000000B848: D1CB0074 84D48174
	v_fma_f32 v117, v117, s64, -v53                            // 00000000B850: D1CB0075 84D48175
	v_fma_f32 v118, v118, s64, -v53                            // 00000000B858: D1CB0076 84D48176
	v_fma_f32 v119, v119, s64, -v53                            // 00000000B860: D1CB0077 84D48177
	v_fma_f32 v120, v120, s64, -v53                            // 00000000B868: D1CB0078 84D48178
	v_fma_f32 v121, v121, s64, -v53                            // 00000000B870: D1CB0079 84D48179
	v_fma_f32 v122, v122, s64, -v53                            // 00000000B878: D1CB007A 84D4817A
	v_fma_f32 v123, v123, s64, -v53                            // 00000000B880: D1CB007B 84D4817B
	v_fma_f32 v124, v124, s64, -v53                            // 00000000B888: D1CB007C 84D4817C
	v_fma_f32 v125, v125, s64, -v53                            // 00000000B890: D1CB007D 84D4817D
	v_fma_f32 v126, v126, s64, -v53                            // 00000000B898: D1CB007E 84D4817E
	v_fma_f32 v127, v127, s64, -v53                            // 00000000B8A0: D1CB007F 84D4817F
	v_exp_f32_e32 v112, v112                                   // 00000000B8A8: 7EE04170
	v_exp_f32_e32 v113, v113                                   // 00000000B8AC: 7EE24171
	v_exp_f32_e32 v114, v114                                   // 00000000B8B0: 7EE44172
	v_exp_f32_e32 v115, v115                                   // 00000000B8B4: 7EE64173
	v_exp_f32_e32 v116, v116                                   // 00000000B8B8: 7EE84174
	v_exp_f32_e32 v117, v117                                   // 00000000B8BC: 7EEA4175
	v_exp_f32_e32 v118, v118                                   // 00000000B8C0: 7EEC4176
	v_exp_f32_e32 v119, v119                                   // 00000000B8C4: 7EEE4177
	v_exp_f32_e32 v120, v120                                   // 00000000B8C8: 7EF04178
	v_exp_f32_e32 v121, v121                                   // 00000000B8CC: 7EF24179
	v_exp_f32_e32 v122, v122                                   // 00000000B8D0: 7EF4417A
	v_exp_f32_e32 v123, v123                                   // 00000000B8D4: 7EF6417B
	v_exp_f32_e32 v124, v124                                   // 00000000B8D8: 7EF8417C
	v_exp_f32_e32 v125, v125                                   // 00000000B8DC: 7EFA417D
	v_exp_f32_e32 v126, v126                                   // 00000000B8E0: 7EFC417E
	v_exp_f32_e32 v127, v127                                   // 00000000B8E4: 7EFE417F
	v_mul_f32_dpp v240, v252, v112 quad_perm:[0,0,0,0] row_mask:0xf bank_mask:0xf// 00000000B8E8: 0BE0E0FA FF0000FC
	v_mul_f32_dpp v241, v252, v113 quad_perm:[1,1,1,1] row_mask:0xf bank_mask:0xf// 00000000B8F0: 0BE2E2FA FF0055FC
	v_mul_f32_dpp v242, v252, v114 quad_perm:[2,2,2,2] row_mask:0xf bank_mask:0xf// 00000000B8F8: 0BE4E4FA FF00AAFC
	v_mul_f32_dpp v243, v252, v115 quad_perm:[3,3,3,3] row_mask:0xf bank_mask:0xf// 00000000B900: 0BE6E6FA FF00FFFC
	v_mul_f32_dpp v244, v253, v116 quad_perm:[0,0,0,0] row_mask:0xf bank_mask:0xf// 00000000B908: 0BE8E8FA FF0000FD
	v_mul_f32_dpp v245, v253, v117 quad_perm:[1,1,1,1] row_mask:0xf bank_mask:0xf// 00000000B910: 0BEAEAFA FF0055FD
	v_mul_f32_dpp v246, v253, v118 quad_perm:[2,2,2,2] row_mask:0xf bank_mask:0xf// 00000000B918: 0BECECFA FF00AAFD
	v_mul_f32_dpp v247, v253, v119 quad_perm:[3,3,3,3] row_mask:0xf bank_mask:0xf// 00000000B920: 0BEEEEFA FF00FFFD
	v_mul_f32_dpp v248, v254, v120 quad_perm:[0,0,0,0] row_mask:0xf bank_mask:0xf// 00000000B928: 0BF0F0FA FF0000FE
	v_mul_f32_dpp v249, v254, v121 quad_perm:[1,1,1,1] row_mask:0xf bank_mask:0xf// 00000000B930: 0BF2F2FA FF0055FE
	v_mul_f32_dpp v250, v254, v122 quad_perm:[2,2,2,2] row_mask:0xf bank_mask:0xf// 00000000B938: 0BF4F4FA FF00AAFE
	v_mul_f32_dpp v251, v254, v123 quad_perm:[3,3,3,3] row_mask:0xf bank_mask:0xf// 00000000B940: 0BF6F6FA FF00FFFE
	v_mul_f32_dpp v252, v255, v124 quad_perm:[0,0,0,0] row_mask:0xf bank_mask:0xf// 00000000B948: 0BF8F8FA FF0000FF
	v_mul_f32_dpp v253, v255, v125 quad_perm:[1,1,1,1] row_mask:0xf bank_mask:0xf// 00000000B950: 0BFAFAFA FF0055FF
	v_mul_f32_dpp v254, v255, v126 quad_perm:[2,2,2,2] row_mask:0xf bank_mask:0xf// 00000000B958: 0BFCFCFA FF00AAFF
	v_mul_f32_dpp v255, v255, v127 quad_perm:[3,3,3,3] row_mask:0xf bank_mask:0xf// 00000000B960: 0BFEFEFA FF00FFFF
	v_mov_b32_e32 v48, 0x358637bd                              // 00000000B968: 7E6002FF 358637BD
	v_max3_f32 v48, |v240|, |v241|, v48                        // 00000000B970: D1D30330 04C3E3F0
	v_max3_f32 v48, |v242|, |v243|, v48                        // 00000000B978: D1D30330 04C3E7F2
	v_max3_f32 v48, |v244|, |v245|, v48                        // 00000000B980: D1D30330 04C3EBF4
	v_max3_f32 v48, |v246|, |v247|, v48                        // 00000000B988: D1D30330 04C3EFF6
	v_max3_f32 v48, |v248|, |v249|, v48                        // 00000000B990: D1D30330 04C3F3F8
	v_max3_f32 v48, |v250|, |v251|, v48                        // 00000000B998: D1D30330 04C3F7FA
	v_max3_f32 v48, |v252|, |v253|, v48                        // 00000000B9A0: D1D30330 04C3FBFC
	v_max3_f32 v48, |v254|, |v255|, v48                        // 00000000B9A8: D1D30330 04C3FFFE
	ds_write_b32 v8, v48 offset:20992                          // 00000000B9B0: D81A5200 00003008
	v_sub_f32_e32 v49, v11, v15                                // 00000000B9B8: 04621F0B
	v_cndmask_b32_e64 v49, v49, 0, s[40:41]                    // 00000000B9BC: D1000031 00A10131
	v_mov_b32_e32 v11, v15                                     // 00000000B9C4: 7E16030F
	v_mul_f32_e32 v49, s64, v49                                // 00000000B9C8: 0A626240
	v_exp_f32_e32 v49, v49                                     // 00000000B9CC: 7E624131
	s_waitcnt lgkmcnt(0)                                       // 00000000B9D0: BF8CC07F
	s_barrier                                                  // 00000000B9D4: BF8A0000
	ds_read_b32 v64, v7 offset:20992                           // 00000000B9D8: D86C5200 40000007
	ds_read_b32 v65, v7 offset:21056                           // 00000000B9E0: D86C5240 41000007
	ds_read_b32 v66, v7 offset:21120                           // 00000000B9E8: D86C5280 42000007
	ds_read_b32 v67, v7 offset:21184                           // 00000000B9F0: D86C52C0 43000007
	ds_read_b32 v68, v7 offset:21248                           // 00000000B9F8: D86C5300 44000007
	ds_read_b32 v69, v7 offset:21312                           // 00000000BA00: D86C5340 45000007
	ds_read_b32 v70, v7 offset:21376                           // 00000000BA08: D86C5380 46000007
	ds_read_b32 v71, v7 offset:21440                           // 00000000BA10: D86C53C0 47000007
	ds_read_b32 v72, v7 offset:21504                           // 00000000BA18: D86C5400 48000007
	ds_read_b32 v73, v7 offset:21568                           // 00000000BA20: D86C5440 49000007
	ds_read_b32 v74, v7 offset:21632                           // 00000000BA28: D86C5480 4A000007
	ds_read_b32 v75, v7 offset:21696                           // 00000000BA30: D86C54C0 4B000007
	ds_read_b32 v76, v7 offset:21760                           // 00000000BA38: D86C5500 4C000007
	ds_read_b32 v77, v7 offset:21824                           // 00000000BA40: D86C5540 4D000007
	ds_read_b32 v78, v7 offset:21888                           // 00000000BA48: D86C5580 4E000007
	ds_read_b32 v79, v7 offset:21952                           // 00000000BA50: D86C55C0 4F000007
	v_mul_f32_e32 v38, v49, v38                                // 00000000BA58: 0A4C4D31
	v_mov_b32_e32 v15, v112                                    // 00000000BA5C: 7E1E0370
	v_add_f32_e32 v15, v113, v15                               // 00000000BA60: 021E1F71
	v_add_f32_e32 v15, v114, v15                               // 00000000BA64: 021E1F72
	v_add_f32_e32 v15, v115, v15                               // 00000000BA68: 021E1F73
	v_add_f32_e32 v15, v116, v15                               // 00000000BA6C: 021E1F74
	v_add_f32_e32 v15, v117, v15                               // 00000000BA70: 021E1F75
	v_add_f32_e32 v15, v118, v15                               // 00000000BA74: 021E1F76
	v_add_f32_e32 v15, v119, v15                               // 00000000BA78: 021E1F77
	v_add_f32_e32 v15, v120, v15                               // 00000000BA7C: 021E1F78
	v_add_f32_e32 v15, v121, v15                               // 00000000BA80: 021E1F79
	v_add_f32_e32 v15, v122, v15                               // 00000000BA84: 021E1F7A
	v_add_f32_e32 v15, v123, v15                               // 00000000BA88: 021E1F7B
	v_add_f32_e32 v15, v124, v15                               // 00000000BA8C: 021E1F7C
	v_add_f32_e32 v15, v125, v15                               // 00000000BA90: 021E1F7D
	v_add_f32_e32 v15, v126, v15                               // 00000000BA94: 021E1F7E
	v_add_f32_e32 v15, v127, v15                               // 00000000BA98: 021E1F7F
	v_add_f32_e32 v38, v15, v38                                // 00000000BA9C: 024C4D0F
	s_waitcnt lgkmcnt(0)                                       // 00000000BAA0: BF8CC07F
	v_max3_f32 v48, |v64|, |v65|, v48                          // 00000000BAA4: D1D30330 04C28340
	v_max3_f32 v48, |v66|, |v67|, v48                          // 00000000BAAC: D1D30330 04C28742
	v_max3_f32 v48, |v68|, |v69|, v48                          // 00000000BAB4: D1D30330 04C28B44
	v_max3_f32 v48, |v70|, |v71|, v48                          // 00000000BABC: D1D30330 04C28F46
	v_max3_f32 v48, |v72|, |v73|, v48                          // 00000000BAC4: D1D30330 04C29348
	v_max3_f32 v48, |v74|, |v75|, v48                          // 00000000BACC: D1D30330 04C2974A
	v_max3_f32 v48, |v76|, |v77|, v48                          // 00000000BAD4: D1D30330 04C29B4C
	v_max3_f32 v48, |v78|, |v79|, v48                          // 00000000BADC: D1D30330 04C29F4E
	s_nop 2                                                    // 00000000BAE4: BF800002
	v_rcp_f32_e32 v48, v48                                     // 00000000BAE8: 7E604530
	s_nop 1                                                    // 00000000BAEC: BF800001
	v_mul_f32_e32 v48, 0x43e00000, v48                         // 00000000BAF0: 0A6060FF 43E00000
	v_mul_f32_e32 v112, v48, v240                              // 00000000BAF8: 0AE1E130
	v_mul_f32_e32 v113, v48, v241                              // 00000000BAFC: 0AE3E330
	v_mul_f32_e32 v114, v48, v242                              // 00000000BB00: 0AE5E530
	v_mul_f32_e32 v115, v48, v243                              // 00000000BB04: 0AE7E730
	v_mul_f32_e32 v116, v48, v244                              // 00000000BB08: 0AE9E930
	v_mul_f32_e32 v117, v48, v245                              // 00000000BB0C: 0AEBEB30
	v_mul_f32_e32 v118, v48, v246                              // 00000000BB10: 0AEDED30
	v_mul_f32_e32 v119, v48, v247                              // 00000000BB14: 0AEFEF30
	v_mul_f32_e32 v120, v48, v248                              // 00000000BB18: 0AF1F130
	v_mul_f32_e32 v121, v48, v249                              // 00000000BB1C: 0AF3F330
	v_mul_f32_e32 v122, v48, v250                              // 00000000BB20: 0AF5F530
	v_mul_f32_e32 v123, v48, v251                              // 00000000BB24: 0AF7F730
	v_mul_f32_e32 v124, v48, v252                              // 00000000BB28: 0AF9F930
	v_mul_f32_e32 v125, v48, v253                              // 00000000BB2C: 0AFBFB30
	v_mul_f32_e32 v126, v48, v254                              // 00000000BB30: 0AFDFD30
	v_mul_f32_e32 v127, v48, v255                              // 00000000BB34: 0AFFFF30
	v_cvt_pk_fp8_f32 v112, v112, v113                          // 00000000BB38: D2A20070 0002E370
	v_cvt_pk_fp8_f32 v112, v114, v115 op_sel:[0,0,1]           // 00000000BB40: D2A24070 0002E772
	v_cvt_pk_fp8_f32 v113, v116, v117                          // 00000000BB48: D2A20071 0002EB74
	v_cvt_pk_fp8_f32 v113, v118, v119 op_sel:[0,0,1]           // 00000000BB50: D2A24071 0002EF76
	v_cvt_pk_fp8_f32 v114, v120, v121                          // 00000000BB58: D2A20072 0002F378
	v_cvt_pk_fp8_f32 v114, v122, v123 op_sel:[0,0,1]           // 00000000BB60: D2A24072 0002F77A
	v_cvt_pk_fp8_f32 v115, v124, v125                          // 00000000BB68: D2A20073 0002FB7C
	v_cvt_pk_fp8_f32 v115, v126, v127 op_sel:[0,0,1]           // 00000000BB70: D2A24073 0002FF7E
	ds_write_b32 v10, v112 offset:25088                        // 00000000BB78: D81A6200 0000700A
	ds_write_b32 v10, v113 offset:26112                        // 00000000BB80: D81A6600 0000710A
	ds_write_b32 v10, v114 offset:27136                        // 00000000BB88: D81A6A00 0000720A
	ds_write_b32 v10, v115 offset:28160                        // 00000000BB90: D81A6E00 0000730A
	v_add_f32_e32 v208, v208, v176                             // 00000000BB98: 03A161D0
	v_add_f32_e32 v209, v209, v177                             // 00000000BB9C: 03A363D1
	v_add_f32_e32 v210, v210, v178                             // 00000000BBA0: 03A565D2
	v_add_f32_e32 v211, v211, v179                             // 00000000BBA4: 03A767D3
	v_add_f32_e32 v212, v212, v180                             // 00000000BBA8: 03A969D4
	v_add_f32_e32 v213, v213, v181                             // 00000000BBAC: 03AB6BD5
	v_add_f32_e32 v214, v214, v182                             // 00000000BBB0: 03AD6DD6
	v_add_f32_e32 v215, v215, v183                             // 00000000BBB4: 03AF6FD7
	v_rcp_f32_e32 v44, v48                                     // 00000000BBB8: 7E584530
	s_waitcnt lgkmcnt(0)                                       // 00000000BBBC: BF8CC07F
	s_barrier                                                  // 00000000BBC0: BF8A0000
	ds_read_b64 v[112:113], v9 offset:25088                    // 00000000BBC4: D8EC6200 70000009
	ds_read_b64 v[114:115], v9 offset:25216                    // 00000000BBCC: D8EC6280 72000009
	ds_read_b64 v[116:117], v9 offset:26112                    // 00000000BBD4: D8EC6600 74000009
	ds_read_b64 v[118:119], v9 offset:26240                    // 00000000BBDC: D8EC6680 76000009
	ds_read_b64 v[120:121], v9 offset:27136                    // 00000000BBE4: D8EC6A00 78000009
	ds_read_b64 v[122:123], v9 offset:27264                    // 00000000BBEC: D8EC6A80 7A000009
	ds_read_b64 v[124:125], v9 offset:28160                    // 00000000BBF4: D8EC6E00 7C000009
	ds_read_b64 v[126:127], v9 offset:28288                    // 00000000BBFC: D8EC6E80 7E000009
	v_mov_b32_dpp v64, v42 row_shr:4 row_mask:0xf bank_mask:0xf// 00000000BC04: 7E8002FA FF01142A
	v_mov_b32_dpp v65, v42 row_shl:4 row_mask:0xf bank_mask:0xf// 00000000BC0C: 7E8202FA FF01042A
	v_cndmask_b32_e64 v248, v42, v64, s[44:45]                 // 00000000BC14: D10000F8 00B2812A
	v_cndmask_b32_e64 v249, v65, v42, s[44:45]                 // 00000000BC1C: D10000F9 00B25541
	v_mov_b32_dpp v64, v248 row_shr:8 row_mask:0xf bank_mask:0xf// 00000000BC24: 7E8002FA FF0118F8
	v_mov_b32_dpp v65, v248 row_shl:8 row_mask:0xf bank_mask:0xf// 00000000BC2C: 7E8202FA FF0108F8
	v_mov_b32_dpp v66, v249 row_shr:8 row_mask:0xf bank_mask:0xf// 00000000BC34: 7E8402FA FF0118F9
	v_mov_b32_dpp v67, v249 row_shl:8 row_mask:0xf bank_mask:0xf// 00000000BC3C: 7E8602FA FF0108F9
	v_mov_b32_e32 v68, v248                                    // 00000000BC44: 7E8803F8
	v_mov_b32_e32 v69, v249                                    // 00000000BC48: 7E8A03F9
	v_cndmask_b32_e64 v248, v68, v64, s[42:43]                 // 00000000BC4C: D10000F8 00AA8144
	v_cndmask_b32_e64 v250, v68, v65, s[78:79]                 // 00000000BC54: D10000FA 013A8344
	v_cndmask_b32_e64 v249, v69, v66, s[42:43]                 // 00000000BC5C: D10000F9 00AA8545
	v_cndmask_b32_e64 v251, v69, v67, s[78:79]                 // 00000000BC64: D10000FB 013A8745
	v_mov_b32_dpp v64, v57 row_shr:4 row_mask:0xf bank_mask:0xf// 00000000BC6C: 7E8002FA FF011439
	v_mov_b32_dpp v65, v57 row_shl:4 row_mask:0xf bank_mask:0xf// 00000000BC74: 7E8202FA FF010439
	v_cndmask_b32_e64 v252, v57, v64, s[44:45]                 // 00000000BC7C: D10000FC 00B28139
	v_cndmask_b32_e64 v253, v65, v57, s[44:45]                 // 00000000BC84: D10000FD 00B27341
	v_mov_b32_dpp v64, v252 row_shr:8 row_mask:0xf bank_mask:0xf// 00000000BC8C: 7E8002FA FF0118FC
	v_mov_b32_dpp v65, v252 row_shl:8 row_mask:0xf bank_mask:0xf// 00000000BC94: 7E8202FA FF0108FC
	v_mov_b32_dpp v66, v253 row_shr:8 row_mask:0xf bank_mask:0xf// 00000000BC9C: 7E8402FA FF0118FD
	v_mov_b32_dpp v67, v253 row_shl:8 row_mask:0xf bank_mask:0xf// 00000000BCA4: 7E8602FA FF0108FD
	v_mov_b32_e32 v68, v252                                    // 00000000BCAC: 7E8803FC
	v_mov_b32_e32 v69, v253                                    // 00000000BCB0: 7E8A03FD
	v_cndmask_b32_e64 v252, v68, v64, s[42:43]                 // 00000000BCB4: D10000FC 00AA8144
	v_cndmask_b32_e64 v254, v68, v65, s[78:79]                 // 00000000BCBC: D10000FE 013A8344
	v_cndmask_b32_e64 v253, v69, v66, s[42:43]                 // 00000000BCC4: D10000FD 00AA8545
	v_cndmask_b32_e64 v255, v69, v67, s[78:79]                 // 00000000BCCC: D10000FF 013A8745
	v_mul_f32_e32 v128, v19, v128                              // 00000000BCD4: 0B010113
	v_mul_f32_e32 v129, v19, v129                              // 00000000BCD8: 0B030313
	v_mul_f32_e32 v130, v19, v130                              // 00000000BCDC: 0B050513
	v_mul_f32_e32 v131, v19, v131                              // 00000000BCE0: 0B070713
	v_mul_f32_e32 v132, v19, v132                              // 00000000BCE4: 0B090913
	v_mul_f32_e32 v133, v19, v133                              // 00000000BCE8: 0B0B0B13
	v_mul_f32_e32 v134, v19, v134                              // 00000000BCEC: 0B0D0D13
	v_mul_f32_e32 v135, v19, v135                              // 00000000BCF0: 0B0F0F13
	v_mul_f32_e32 v136, v19, v136                              // 00000000BCF4: 0B111113
	v_mul_f32_e32 v137, v19, v137                              // 00000000BCF8: 0B131313
	v_mul_f32_e32 v138, v19, v138                              // 00000000BCFC: 0B151513
	v_mul_f32_e32 v139, v19, v139                              // 00000000BD00: 0B171713
	v_mul_f32_e32 v140, v19, v140                              // 00000000BD04: 0B191913
	v_mul_f32_e32 v141, v19, v141                              // 00000000BD08: 0B1B1B13
	v_mul_f32_e32 v142, v19, v142                              // 00000000BD0C: 0B1D1D13
	v_mul_f32_e32 v143, v19, v143                              // 00000000BD10: 0B1F1F13
	v_mul_f32_dpp v128, v248, v128 quad_perm:[0,0,0,0] row_mask:0xf bank_mask:0xf// 00000000BD14: 0B0100FA FF0000F8
	v_mul_f32_dpp v129, v248, v129 quad_perm:[1,1,1,1] row_mask:0xf bank_mask:0xf// 00000000BD1C: 0B0302FA FF0055F8
	v_mul_f32_dpp v130, v248, v130 quad_perm:[2,2,2,2] row_mask:0xf bank_mask:0xf// 00000000BD24: 0B0504FA FF00AAF8
	v_mul_f32_dpp v131, v248, v131 quad_perm:[3,3,3,3] row_mask:0xf bank_mask:0xf// 00000000BD2C: 0B0706FA FF00FFF8
	v_mul_f32_dpp v132, v249, v132 quad_perm:[0,0,0,0] row_mask:0xf bank_mask:0xf// 00000000BD34: 0B0908FA FF0000F9
	v_mul_f32_dpp v133, v249, v133 quad_perm:[1,1,1,1] row_mask:0xf bank_mask:0xf// 00000000BD3C: 0B0B0AFA FF0055F9
	v_mul_f32_dpp v134, v249, v134 quad_perm:[2,2,2,2] row_mask:0xf bank_mask:0xf// 00000000BD44: 0B0D0CFA FF00AAF9
	v_mul_f32_dpp v135, v249, v135 quad_perm:[3,3,3,3] row_mask:0xf bank_mask:0xf// 00000000BD4C: 0B0F0EFA FF00FFF9
	v_mul_f32_dpp v136, v250, v136 quad_perm:[0,0,0,0] row_mask:0xf bank_mask:0xf// 00000000BD54: 0B1110FA FF0000FA
	v_mul_f32_dpp v137, v250, v137 quad_perm:[1,1,1,1] row_mask:0xf bank_mask:0xf// 00000000BD5C: 0B1312FA FF0055FA
	v_mul_f32_dpp v138, v250, v138 quad_perm:[2,2,2,2] row_mask:0xf bank_mask:0xf// 00000000BD64: 0B1514FA FF00AAFA
	v_mul_f32_dpp v139, v250, v139 quad_perm:[3,3,3,3] row_mask:0xf bank_mask:0xf// 00000000BD6C: 0B1716FA FF00FFFA
	v_mul_f32_dpp v140, v251, v140 quad_perm:[0,0,0,0] row_mask:0xf bank_mask:0xf// 00000000BD74: 0B1918FA FF0000FB
	v_mul_f32_dpp v141, v251, v141 quad_perm:[1,1,1,1] row_mask:0xf bank_mask:0xf// 00000000BD7C: 0B1B1AFA FF0055FB
	v_mul_f32_dpp v142, v251, v142 quad_perm:[2,2,2,2] row_mask:0xf bank_mask:0xf// 00000000BD84: 0B1D1CFA FF00AAFB
	v_mul_f32_dpp v143, v251, v143 quad_perm:[3,3,3,3] row_mask:0xf bank_mask:0xf// 00000000BD8C: 0B1F1EFA FF00FFFB
	s_and_b32 s60, s72, 0xff                                   // 00000000BD94: 863CFF48 000000FF
	v_mov_b32_e32 v65, s60                                     // 00000000BD9C: 7E82023C
	v_lshrrev_b32_e32 v240, 4, v0                              // 00000000BDA0: 21E00084
	v_mul_i32_i24_e32 v240, 4, v240                            // 00000000BDA4: 0DE1E084
	s_mul_i32 s60, s7, 16                                      // 00000000BDA8: 923C9007
	v_add_u32_e32 v240, s60, v240                              // 00000000BDAC: 69E1E03C
	v_add_u32_e32 v241, 1, v240                                // 00000000BDB0: 69E3E081
	v_add_u32_e32 v242, 2, v240                                // 00000000BDB4: 69E5E082
	v_add_u32_e32 v243, 3, v240                                // 00000000BDB8: 69E7E083
	v_mov_b32_e32 v64, 0xff800000                              // 00000000BDBC: 7E8002FF FF800000
	v_cmp_lt_u32_e64 s[40:41], v240, v65                       // 00000000BDC4: D0C90028 000283F0
	v_add_u32_e32 v240, 64, v240                               // 00000000BDCC: 69E1E0C0
	s_nop 0                                                    // 00000000BDD0: BF800000
	v_cndmask_b32_e64 v128, v64, v128, s[40:41]                // 00000000BDD4: D1000080 00A30140
	v_cmp_lt_u32_e64 s[40:41], v241, v65                       // 00000000BDDC: D0C90028 000283F1
	v_add_u32_e32 v241, 64, v241                               // 00000000BDE4: 69E3E2C0
	s_nop 0                                                    // 00000000BDE8: BF800000
	v_cndmask_b32_e64 v129, v64, v129, s[40:41]                // 00000000BDEC: D1000081 00A30340
	v_cmp_lt_u32_e64 s[40:41], v242, v65                       // 00000000BDF4: D0C90028 000283F2
	v_add_u32_e32 v242, 64, v242                               // 00000000BDFC: 69E5E4C0
	s_nop 0                                                    // 00000000BE00: BF800000
	v_cndmask_b32_e64 v130, v64, v130, s[40:41]                // 00000000BE04: D1000082 00A30540
	v_cmp_lt_u32_e64 s[40:41], v243, v65                       // 00000000BE0C: D0C90028 000283F3
	v_add_u32_e32 v243, 64, v243                               // 00000000BE14: 69E7E6C0
	s_nop 0                                                    // 00000000BE18: BF800000
	v_cndmask_b32_e64 v131, v64, v131, s[40:41]                // 00000000BE1C: D1000083 00A30740
	v_cmp_lt_u32_e64 s[40:41], v240, v65                       // 00000000BE24: D0C90028 000283F0
	v_add_u32_e32 v240, 64, v240                               // 00000000BE2C: 69E1E0C0
	s_nop 0                                                    // 00000000BE30: BF800000
	v_cndmask_b32_e64 v132, v64, v132, s[40:41]                // 00000000BE34: D1000084 00A30940
	v_cmp_lt_u32_e64 s[40:41], v241, v65                       // 00000000BE3C: D0C90028 000283F1
	v_add_u32_e32 v241, 64, v241                               // 00000000BE44: 69E3E2C0
	s_nop 0                                                    // 00000000BE48: BF800000
	v_cndmask_b32_e64 v133, v64, v133, s[40:41]                // 00000000BE4C: D1000085 00A30B40
	v_cmp_lt_u32_e64 s[40:41], v242, v65                       // 00000000BE54: D0C90028 000283F2
	v_add_u32_e32 v242, 64, v242                               // 00000000BE5C: 69E5E4C0
	s_nop 0                                                    // 00000000BE60: BF800000
	v_cndmask_b32_e64 v134, v64, v134, s[40:41]                // 00000000BE64: D1000086 00A30D40
	v_cmp_lt_u32_e64 s[40:41], v243, v65                       // 00000000BE6C: D0C90028 000283F3
	v_add_u32_e32 v243, 64, v243                               // 00000000BE74: 69E7E6C0
	s_nop 0                                                    // 00000000BE78: BF800000
	v_cndmask_b32_e64 v135, v64, v135, s[40:41]                // 00000000BE7C: D1000087 00A30F40
	v_cmp_lt_u32_e64 s[40:41], v240, v65                       // 00000000BE84: D0C90028 000283F0
	v_add_u32_e32 v240, 64, v240                               // 00000000BE8C: 69E1E0C0
	s_nop 0                                                    // 00000000BE90: BF800000
	v_cndmask_b32_e64 v136, v64, v136, s[40:41]                // 00000000BE94: D1000088 00A31140
	v_cmp_lt_u32_e64 s[40:41], v241, v65                       // 00000000BE9C: D0C90028 000283F1
	v_add_u32_e32 v241, 64, v241                               // 00000000BEA4: 69E3E2C0
	s_nop 0                                                    // 00000000BEA8: BF800000
	v_cndmask_b32_e64 v137, v64, v137, s[40:41]                // 00000000BEAC: D1000089 00A31340
	v_cmp_lt_u32_e64 s[40:41], v242, v65                       // 00000000BEB4: D0C90028 000283F2
	v_add_u32_e32 v242, 64, v242                               // 00000000BEBC: 69E5E4C0
	s_nop 0                                                    // 00000000BEC0: BF800000
	v_cndmask_b32_e64 v138, v64, v138, s[40:41]                // 00000000BEC4: D100008A 00A31540
	v_cmp_lt_u32_e64 s[40:41], v243, v65                       // 00000000BECC: D0C90028 000283F3
	v_add_u32_e32 v243, 64, v243                               // 00000000BED4: 69E7E6C0
	s_nop 0                                                    // 00000000BED8: BF800000
	v_cndmask_b32_e64 v139, v64, v139, s[40:41]                // 00000000BEDC: D100008B 00A31740
	v_cmp_lt_u32_e64 s[40:41], v240, v65                       // 00000000BEE4: D0C90028 000283F0
	v_add_u32_e32 v240, 64, v240                               // 00000000BEEC: 69E1E0C0
	s_nop 0                                                    // 00000000BEF0: BF800000
	v_cndmask_b32_e64 v140, v64, v140, s[40:41]                // 00000000BEF4: D100008C 00A31940
	v_cmp_lt_u32_e64 s[40:41], v241, v65                       // 00000000BEFC: D0C90028 000283F1
	v_add_u32_e32 v241, 64, v241                               // 00000000BF04: 69E3E2C0
	s_nop 0                                                    // 00000000BF08: BF800000
	v_cndmask_b32_e64 v141, v64, v141, s[40:41]                // 00000000BF0C: D100008D 00A31B40
	v_cmp_lt_u32_e64 s[40:41], v242, v65                       // 00000000BF14: D0C90028 000283F2
	v_add_u32_e32 v242, 64, v242                               // 00000000BF1C: 69E5E4C0
	s_nop 0                                                    // 00000000BF20: BF800000
	v_cndmask_b32_e64 v142, v64, v142, s[40:41]                // 00000000BF24: D100008E 00A31D40
	v_cmp_lt_u32_e64 s[40:41], v243, v65                       // 00000000BF2C: D0C90028 000283F3
	v_add_u32_e32 v243, 64, v243                               // 00000000BF34: 69E7E6C0
	s_nop 0                                                    // 00000000BF38: BF800000
	v_cndmask_b32_e64 v143, v64, v143, s[40:41]                // 00000000BF3C: D100008F 00A31F40
	v_mov_b32_e32 v48, v128                                    // 00000000BF44: 7E600380
	v_max3_f32 v48, v128, v129, v48                            // 00000000BF48: D1D30030 04C30380
	v_max3_f32 v48, v130, v131, v48                            // 00000000BF50: D1D30030 04C30782
	v_max3_f32 v48, v132, v133, v48                            // 00000000BF58: D1D30030 04C30B84
	v_max3_f32 v48, v134, v135, v48                            // 00000000BF60: D1D30030 04C30F86
	v_max3_f32 v48, v136, v137, v48                            // 00000000BF68: D1D30030 04C31388
	v_max3_f32 v48, v138, v139, v48                            // 00000000BF70: D1D30030 04C3178A
	v_max3_f32 v48, v140, v141, v48                            // 00000000BF78: D1D30030 04C31B8C
	v_max3_f32 v48, v142, v143, v48                            // 00000000BF80: D1D30030 04C31F8E
	ds_write_b32 v8, v48 offset:16896                          // 00000000BF88: D81A4200 00003008
	v_mul_f32_e32 v216, v50, v216                              // 00000000BF90: 0BB1B132
	v_mul_f32_e32 v217, v50, v217                              // 00000000BF94: 0BB3B332
	v_mul_f32_e32 v218, v50, v218                              // 00000000BF98: 0BB5B532
	v_mul_f32_e32 v219, v50, v219                              // 00000000BF9C: 0BB7B732
	v_mul_f32_e32 v220, v50, v220                              // 00000000BFA0: 0BB9B932
	v_mul_f32_e32 v221, v50, v221                              // 00000000BFA4: 0BBBBB32
	v_mul_f32_e32 v222, v50, v222                              // 00000000BFA8: 0BBDBD32
	v_mul_f32_e32 v223, v50, v223                              // 00000000BFAC: 0BBFBF32
	s_waitcnt lgkmcnt(0)                                       // 00000000BFB0: BF8CC07F
	s_barrier                                                  // 00000000BFB4: BF8A0000
	ds_read_b32 v64, v7 offset:16896                           // 00000000BFB8: D86C4200 40000007
	ds_read_b32 v65, v7 offset:16960                           // 00000000BFC0: D86C4240 41000007
	ds_read_b32 v66, v7 offset:17024                           // 00000000BFC8: D86C4280 42000007
	ds_read_b32 v67, v7 offset:17088                           // 00000000BFD0: D86C42C0 43000007
	ds_read_b32 v68, v7 offset:17152                           // 00000000BFD8: D86C4300 44000007
	ds_read_b32 v69, v7 offset:17216                           // 00000000BFE0: D86C4340 45000007
	ds_read_b32 v70, v7 offset:17280                           // 00000000BFE8: D86C4380 46000007
	ds_read_b32 v71, v7 offset:17344                           // 00000000BFF0: D86C43C0 47000007
	ds_read_b32 v72, v7 offset:17408                           // 00000000BFF8: D86C4400 48000007
	ds_read_b32 v73, v7 offset:17472                           // 00000000C000: D86C4440 49000007
	ds_read_b32 v74, v7 offset:17536                           // 00000000C008: D86C4480 4A000007
	ds_read_b32 v75, v7 offset:17600                           // 00000000C010: D86C44C0 4B000007
	ds_read_b32 v76, v7 offset:17664                           // 00000000C018: D86C4500 4C000007
	ds_read_b32 v77, v7 offset:17728                           // 00000000C020: D86C4540 4D000007
	ds_read_b32 v78, v7 offset:17792                           // 00000000C028: D86C4580 4E000007
	ds_read_b32 v79, v7 offset:17856                           // 00000000C030: D86C45C0 4F000007
	v_mul_f32_e32 v184, v45, v184                              // 00000000C038: 0B71712D
	v_mul_f32_e32 v185, v45, v185                              // 00000000C03C: 0B73732D
	v_mul_f32_e32 v186, v45, v186                              // 00000000C040: 0B75752D
	v_mul_f32_e32 v187, v45, v187                              // 00000000C044: 0B77772D
	v_mul_f32_e32 v188, v45, v188                              // 00000000C048: 0B79792D
	v_mul_f32_e32 v189, v45, v189                              // 00000000C04C: 0B7B7B2D
	v_mul_f32_e32 v190, v45, v190                              // 00000000C050: 0B7D7D2D
	v_mul_f32_e32 v191, v45, v191                              // 00000000C054: 0B7F7F2D
	s_waitcnt lgkmcnt(0)                                       // 00000000C058: BF8CC07F
	v_max3_f32 v48, v64, v65, v48                              // 00000000C05C: D1D30030 04C28340
	v_max3_f32 v48, v66, v67, v48                              // 00000000C064: D1D30030 04C28742
	v_max3_f32 v48, v68, v69, v48                              // 00000000C06C: D1D30030 04C28B44
	v_max3_f32 v48, v70, v71, v48                              // 00000000C074: D1D30030 04C28F46
	v_max3_f32 v48, v72, v73, v48                              // 00000000C07C: D1D30030 04C29348
	v_max3_f32 v48, v74, v75, v48                              // 00000000C084: D1D30030 04C2974A
	v_max3_f32 v48, v76, v77, v48                              // 00000000C08C: D1D30030 04C29B4C
	v_max3_f32 v48, v78, v79, v48                              // 00000000C094: D1D30030 04C29F4E
	v_mov_b32_e32 v64, 0xff800000                              // 00000000C09C: 7E8002FF FF800000
	v_cmp_eq_u32_e64 s[40:41], v64, v12                        // 00000000C0A4: D0CA0028 00021940
	s_nop 1                                                    // 00000000C0AC: BF800001
	v_max_f32_e32 v15, v48, v12                                // 00000000C0B0: 161E1930
	v_mul_f32_e32 v53, s64, v15                                // 00000000C0B4: 0A6A1E40
	v_fma_f32 v128, v128, s64, -v53                            // 00000000C0B8: D1CB0080 84D48180
	v_fma_f32 v129, v129, s64, -v53                            // 00000000C0C0: D1CB0081 84D48181
	v_fma_f32 v130, v130, s64, -v53                            // 00000000C0C8: D1CB0082 84D48182
	v_fma_f32 v131, v131, s64, -v53                            // 00000000C0D0: D1CB0083 84D48183
	v_fma_f32 v132, v132, s64, -v53                            // 00000000C0D8: D1CB0084 84D48184
	v_fma_f32 v133, v133, s64, -v53                            // 00000000C0E0: D1CB0085 84D48185
	v_fma_f32 v134, v134, s64, -v53                            // 00000000C0E8: D1CB0086 84D48186
	v_fma_f32 v135, v135, s64, -v53                            // 00000000C0F0: D1CB0087 84D48187
	v_fma_f32 v136, v136, s64, -v53                            // 00000000C0F8: D1CB0088 84D48188
	v_fma_f32 v137, v137, s64, -v53                            // 00000000C100: D1CB0089 84D48189
	v_fma_f32 v138, v138, s64, -v53                            // 00000000C108: D1CB008A 84D4818A
	v_fma_f32 v139, v139, s64, -v53                            // 00000000C110: D1CB008B 84D4818B
	v_fma_f32 v140, v140, s64, -v53                            // 00000000C118: D1CB008C 84D4818C
	v_fma_f32 v141, v141, s64, -v53                            // 00000000C120: D1CB008D 84D4818D
	v_fma_f32 v142, v142, s64, -v53                            // 00000000C128: D1CB008E 84D4818E
	v_fma_f32 v143, v143, s64, -v53                            // 00000000C130: D1CB008F 84D4818F
	v_exp_f32_e32 v128, v128                                   // 00000000C138: 7F004180
	v_exp_f32_e32 v129, v129                                   // 00000000C13C: 7F024181
	v_exp_f32_e32 v130, v130                                   // 00000000C140: 7F044182
	v_exp_f32_e32 v131, v131                                   // 00000000C144: 7F064183
	v_exp_f32_e32 v132, v132                                   // 00000000C148: 7F084184
	v_exp_f32_e32 v133, v133                                   // 00000000C14C: 7F0A4185
	v_exp_f32_e32 v134, v134                                   // 00000000C150: 7F0C4186
	v_exp_f32_e32 v135, v135                                   // 00000000C154: 7F0E4187
	v_exp_f32_e32 v136, v136                                   // 00000000C158: 7F104188
	v_exp_f32_e32 v137, v137                                   // 00000000C15C: 7F124189
	v_exp_f32_e32 v138, v138                                   // 00000000C160: 7F14418A
	v_exp_f32_e32 v139, v139                                   // 00000000C164: 7F16418B
	v_exp_f32_e32 v140, v140                                   // 00000000C168: 7F18418C
	v_exp_f32_e32 v141, v141                                   // 00000000C16C: 7F1A418D
	v_exp_f32_e32 v142, v142                                   // 00000000C170: 7F1C418E
	v_exp_f32_e32 v143, v143                                   // 00000000C174: 7F1E418F
	v_mul_f32_dpp v240, v252, v128 quad_perm:[0,0,0,0] row_mask:0xf bank_mask:0xf// 00000000C178: 0BE100FA FF0000FC
	v_mul_f32_dpp v241, v252, v129 quad_perm:[1,1,1,1] row_mask:0xf bank_mask:0xf// 00000000C180: 0BE302FA FF0055FC
	v_mul_f32_dpp v242, v252, v130 quad_perm:[2,2,2,2] row_mask:0xf bank_mask:0xf// 00000000C188: 0BE504FA FF00AAFC
	v_mul_f32_dpp v243, v252, v131 quad_perm:[3,3,3,3] row_mask:0xf bank_mask:0xf// 00000000C190: 0BE706FA FF00FFFC
	v_mul_f32_dpp v244, v253, v132 quad_perm:[0,0,0,0] row_mask:0xf bank_mask:0xf// 00000000C198: 0BE908FA FF0000FD
	v_mul_f32_dpp v245, v253, v133 quad_perm:[1,1,1,1] row_mask:0xf bank_mask:0xf// 00000000C1A0: 0BEB0AFA FF0055FD
	v_mul_f32_dpp v246, v253, v134 quad_perm:[2,2,2,2] row_mask:0xf bank_mask:0xf// 00000000C1A8: 0BED0CFA FF00AAFD
	v_mul_f32_dpp v247, v253, v135 quad_perm:[3,3,3,3] row_mask:0xf bank_mask:0xf// 00000000C1B0: 0BEF0EFA FF00FFFD
	v_mul_f32_dpp v248, v254, v136 quad_perm:[0,0,0,0] row_mask:0xf bank_mask:0xf// 00000000C1B8: 0BF110FA FF0000FE
	v_mul_f32_dpp v249, v254, v137 quad_perm:[1,1,1,1] row_mask:0xf bank_mask:0xf// 00000000C1C0: 0BF312FA FF0055FE
	v_mul_f32_dpp v250, v254, v138 quad_perm:[2,2,2,2] row_mask:0xf bank_mask:0xf// 00000000C1C8: 0BF514FA FF00AAFE
	v_mul_f32_dpp v251, v254, v139 quad_perm:[3,3,3,3] row_mask:0xf bank_mask:0xf// 00000000C1D0: 0BF716FA FF00FFFE
	v_mul_f32_dpp v252, v255, v140 quad_perm:[0,0,0,0] row_mask:0xf bank_mask:0xf// 00000000C1D8: 0BF918FA FF0000FF
	v_mul_f32_dpp v253, v255, v141 quad_perm:[1,1,1,1] row_mask:0xf bank_mask:0xf// 00000000C1E0: 0BFB1AFA FF0055FF
	v_mul_f32_dpp v254, v255, v142 quad_perm:[2,2,2,2] row_mask:0xf bank_mask:0xf// 00000000C1E8: 0BFD1CFA FF00AAFF
	v_mul_f32_dpp v255, v255, v143 quad_perm:[3,3,3,3] row_mask:0xf bank_mask:0xf// 00000000C1F0: 0BFF1EFA FF00FFFF
	v_mov_b32_e32 v48, 0x358637bd                              // 00000000C1F8: 7E6002FF 358637BD
	v_max3_f32 v48, |v240|, |v241|, v48                        // 00000000C200: D1D30330 04C3E3F0
	v_max3_f32 v48, |v242|, |v243|, v48                        // 00000000C208: D1D30330 04C3E7F2
	v_max3_f32 v48, |v244|, |v245|, v48                        // 00000000C210: D1D30330 04C3EBF4
	v_max3_f32 v48, |v246|, |v247|, v48                        // 00000000C218: D1D30330 04C3EFF6
	v_max3_f32 v48, |v248|, |v249|, v48                        // 00000000C220: D1D30330 04C3F3F8
	v_max3_f32 v48, |v250|, |v251|, v48                        // 00000000C228: D1D30330 04C3F7FA
	v_max3_f32 v48, |v252|, |v253|, v48                        // 00000000C230: D1D30330 04C3FBFC
	v_max3_f32 v48, |v254|, |v255|, v48                        // 00000000C238: D1D30330 04C3FFFE
	ds_write_b32 v8, v48 offset:20992                          // 00000000C240: D81A5200 00003008
	v_sub_f32_e32 v50, v12, v15                                // 00000000C248: 04641F0C
	v_cndmask_b32_e64 v50, v50, 0, s[40:41]                    // 00000000C24C: D1000032 00A10132
	v_mov_b32_e32 v12, v15                                     // 00000000C254: 7E18030F
	v_mul_f32_e32 v50, s64, v50                                // 00000000C258: 0A646440
	v_exp_f32_e32 v50, v50                                     // 00000000C25C: 7E644132
	s_waitcnt lgkmcnt(0)                                       // 00000000C260: BF8CC07F
	s_barrier                                                  // 00000000C264: BF8A0000
	ds_read_b32 v64, v7 offset:20992                           // 00000000C268: D86C5200 40000007
	ds_read_b32 v65, v7 offset:21056                           // 00000000C270: D86C5240 41000007
	ds_read_b32 v66, v7 offset:21120                           // 00000000C278: D86C5280 42000007
	ds_read_b32 v67, v7 offset:21184                           // 00000000C280: D86C52C0 43000007
	ds_read_b32 v68, v7 offset:21248                           // 00000000C288: D86C5300 44000007
	ds_read_b32 v69, v7 offset:21312                           // 00000000C290: D86C5340 45000007
	ds_read_b32 v70, v7 offset:21376                           // 00000000C298: D86C5380 46000007
	ds_read_b32 v71, v7 offset:21440                           // 00000000C2A0: D86C53C0 47000007
	ds_read_b32 v72, v7 offset:21504                           // 00000000C2A8: D86C5400 48000007
	ds_read_b32 v73, v7 offset:21568                           // 00000000C2B0: D86C5440 49000007
	ds_read_b32 v74, v7 offset:21632                           // 00000000C2B8: D86C5480 4A000007
	ds_read_b32 v75, v7 offset:21696                           // 00000000C2C0: D86C54C0 4B000007
	ds_read_b32 v76, v7 offset:21760                           // 00000000C2C8: D86C5500 4C000007
	ds_read_b32 v77, v7 offset:21824                           // 00000000C2D0: D86C5540 4D000007
	ds_read_b32 v78, v7 offset:21888                           // 00000000C2D8: D86C5580 4E000007
	ds_read_b32 v79, v7 offset:21952                           // 00000000C2E0: D86C55C0 4F000007
	v_mul_f32_e32 v39, v50, v39                                // 00000000C2E8: 0A4E4F32
	v_mov_b32_e32 v15, v128                                    // 00000000C2EC: 7E1E0380
	v_add_f32_e32 v15, v129, v15                               // 00000000C2F0: 021E1F81
	v_add_f32_e32 v15, v130, v15                               // 00000000C2F4: 021E1F82
	v_add_f32_e32 v15, v131, v15                               // 00000000C2F8: 021E1F83
	v_add_f32_e32 v15, v132, v15                               // 00000000C2FC: 021E1F84
	v_add_f32_e32 v15, v133, v15                               // 00000000C300: 021E1F85
	v_add_f32_e32 v15, v134, v15                               // 00000000C304: 021E1F86
	v_add_f32_e32 v15, v135, v15                               // 00000000C308: 021E1F87
	v_add_f32_e32 v15, v136, v15                               // 00000000C30C: 021E1F88
	v_add_f32_e32 v15, v137, v15                               // 00000000C310: 021E1F89
	v_add_f32_e32 v15, v138, v15                               // 00000000C314: 021E1F8A
	v_add_f32_e32 v15, v139, v15                               // 00000000C318: 021E1F8B
	v_add_f32_e32 v15, v140, v15                               // 00000000C31C: 021E1F8C
	v_add_f32_e32 v15, v141, v15                               // 00000000C320: 021E1F8D
	v_add_f32_e32 v15, v142, v15                               // 00000000C324: 021E1F8E
	v_add_f32_e32 v15, v143, v15                               // 00000000C328: 021E1F8F
	v_add_f32_e32 v39, v15, v39                                // 00000000C32C: 024E4F0F
	s_waitcnt lgkmcnt(0)                                       // 00000000C330: BF8CC07F
	v_max3_f32 v48, |v64|, |v65|, v48                          // 00000000C334: D1D30330 04C28340
	v_max3_f32 v48, |v66|, |v67|, v48                          // 00000000C33C: D1D30330 04C28742
	v_max3_f32 v48, |v68|, |v69|, v48                          // 00000000C344: D1D30330 04C28B44
	v_max3_f32 v48, |v70|, |v71|, v48                          // 00000000C34C: D1D30330 04C28F46
	v_max3_f32 v48, |v72|, |v73|, v48                          // 00000000C354: D1D30330 04C29348
	v_max3_f32 v48, |v74|, |v75|, v48                          // 00000000C35C: D1D30330 04C2974A
	v_max3_f32 v48, |v76|, |v77|, v48                          // 00000000C364: D1D30330 04C29B4C
	v_max3_f32 v48, |v78|, |v79|, v48                          // 00000000C36C: D1D30330 04C29F4E
	s_nop 2                                                    // 00000000C374: BF800002
	v_rcp_f32_e32 v48, v48                                     // 00000000C378: 7E604530
	s_nop 1                                                    // 00000000C37C: BF800001
	v_mul_f32_e32 v48, 0x43e00000, v48                         // 00000000C380: 0A6060FF 43E00000
	v_mul_f32_e32 v128, v48, v240                              // 00000000C388: 0B01E130
	v_mul_f32_e32 v129, v48, v241                              // 00000000C38C: 0B03E330
	v_mul_f32_e32 v130, v48, v242                              // 00000000C390: 0B05E530
	v_mul_f32_e32 v131, v48, v243                              // 00000000C394: 0B07E730
	v_mul_f32_e32 v132, v48, v244                              // 00000000C398: 0B09E930
	v_mul_f32_e32 v133, v48, v245                              // 00000000C39C: 0B0BEB30
	v_mul_f32_e32 v134, v48, v246                              // 00000000C3A0: 0B0DED30
	v_mul_f32_e32 v135, v48, v247                              // 00000000C3A4: 0B0FEF30
	v_mul_f32_e32 v136, v48, v248                              // 00000000C3A8: 0B11F130
	v_mul_f32_e32 v137, v48, v249                              // 00000000C3AC: 0B13F330
	v_mul_f32_e32 v138, v48, v250                              // 00000000C3B0: 0B15F530
	v_mul_f32_e32 v139, v48, v251                              // 00000000C3B4: 0B17F730
	v_mul_f32_e32 v140, v48, v252                              // 00000000C3B8: 0B19F930
	v_mul_f32_e32 v141, v48, v253                              // 00000000C3BC: 0B1BFB30
	v_mul_f32_e32 v142, v48, v254                              // 00000000C3C0: 0B1DFD30
	v_mul_f32_e32 v143, v48, v255                              // 00000000C3C4: 0B1FFF30
	v_cvt_pk_fp8_f32 v128, v128, v129                          // 00000000C3C8: D2A20080 00030380
	v_cvt_pk_fp8_f32 v128, v130, v131 op_sel:[0,0,1]           // 00000000C3D0: D2A24080 00030782
	v_cvt_pk_fp8_f32 v129, v132, v133                          // 00000000C3D8: D2A20081 00030B84
	v_cvt_pk_fp8_f32 v129, v134, v135 op_sel:[0,0,1]           // 00000000C3E0: D2A24081 00030F86
	v_cvt_pk_fp8_f32 v130, v136, v137                          // 00000000C3E8: D2A20082 00031388
	v_cvt_pk_fp8_f32 v130, v138, v139 op_sel:[0,0,1]           // 00000000C3F0: D2A24082 0003178A
	v_cvt_pk_fp8_f32 v131, v140, v141                          // 00000000C3F8: D2A20083 00031B8C
	v_cvt_pk_fp8_f32 v131, v142, v143 op_sel:[0,0,1]           // 00000000C400: D2A24083 00031F8E
	ds_write_b32 v10, v128 offset:29184                        // 00000000C408: D81A7200 0000800A
	ds_write_b32 v10, v129 offset:30208                        // 00000000C410: D81A7600 0000810A
	ds_write_b32 v10, v130 offset:31232                        // 00000000C418: D81A7A00 0000820A
	ds_write_b32 v10, v131 offset:32256                        // 00000000C420: D81A7E00 0000830A
	v_add_f32_e32 v216, v216, v184                             // 00000000C428: 03B171D8
	v_add_f32_e32 v217, v217, v185                             // 00000000C42C: 03B373D9
	v_add_f32_e32 v218, v218, v186                             // 00000000C430: 03B575DA
	v_add_f32_e32 v219, v219, v187                             // 00000000C434: 03B777DB
	v_add_f32_e32 v220, v220, v188                             // 00000000C438: 03B979DC
	v_add_f32_e32 v221, v221, v189                             // 00000000C43C: 03BB7BDD
	v_add_f32_e32 v222, v222, v190                             // 00000000C440: 03BD7DDE
	v_add_f32_e32 v223, v223, v191                             // 00000000C444: 03BF7FDF
	v_rcp_f32_e32 v45, v48                                     // 00000000C448: 7E5A4530
	s_waitcnt lgkmcnt(0)                                       // 00000000C44C: BF8CC07F
	s_barrier                                                  // 00000000C450: BF8A0000
	ds_read_b64 v[128:129], v9 offset:29184                    // 00000000C454: D8EC7200 80000009
	ds_read_b64 v[130:131], v9 offset:29312                    // 00000000C45C: D8EC7280 82000009
	ds_read_b64 v[132:133], v9 offset:30208                    // 00000000C464: D8EC7600 84000009
	ds_read_b64 v[134:135], v9 offset:30336                    // 00000000C46C: D8EC7680 86000009
	ds_read_b64 v[136:137], v9 offset:31232                    // 00000000C474: D8EC7A00 88000009
	ds_read_b64 v[138:139], v9 offset:31360                    // 00000000C47C: D8EC7A80 8A000009
	ds_read_b64 v[140:141], v9 offset:32256                    // 00000000C484: D8EC7E00 8C000009
	ds_read_b64 v[142:143], v9 offset:32384                    // 00000000C48C: D8EC7E80 8E000009
	s_waitcnt vmcnt(0)                                         // 00000000C494: BF8C0F70
	s_barrier                                                  // 00000000C498: BF8A0000
	v_mfma_f32_16x16x32_fp8_fp8 v[176:179], a[64:65], v[112:113], 0// 00000000C49C: D3F300B0 0A02E140
	v_mfma_f32_16x16x32_fp8_fp8 v[176:179], a[66:67], v[114:115], v[176:179]// 00000000C4A4: D3F300B0 0EC2E542
	v_mfma_f32_16x16x32_fp8_fp8 v[176:179], a[68:69], v[116:117], v[176:179]// 00000000C4AC: D3F300B0 0EC2E944
	v_mfma_f32_16x16x32_fp8_fp8 v[176:179], a[70:71], v[118:119], v[176:179]// 00000000C4B4: D3F300B0 0EC2ED46
	v_mfma_f32_16x16x32_fp8_fp8 v[176:179], a[72:73], v[120:121], v[176:179]// 00000000C4BC: D3F300B0 0EC2F148
	v_mfma_f32_16x16x32_fp8_fp8 v[176:179], a[74:75], v[122:123], v[176:179]// 00000000C4C4: D3F300B0 0EC2F54A
	v_mfma_f32_16x16x32_fp8_fp8 v[176:179], a[76:77], v[124:125], v[176:179]// 00000000C4CC: D3F300B0 0EC2F94C
	v_mfma_f32_16x16x32_fp8_fp8 v[176:179], a[78:79], v[126:127], v[176:179]// 00000000C4D4: D3F300B0 0EC2FD4E
	v_mfma_f32_16x16x32_fp8_fp8 v[180:183], a[80:81], v[112:113], 0// 00000000C4DC: D3F300B4 0A02E150
	v_mfma_f32_16x16x32_fp8_fp8 v[180:183], a[82:83], v[114:115], v[180:183]// 00000000C4E4: D3F300B4 0ED2E552
	v_mfma_f32_16x16x32_fp8_fp8 v[180:183], a[84:85], v[116:117], v[180:183]// 00000000C4EC: D3F300B4 0ED2E954
	v_mfma_f32_16x16x32_fp8_fp8 v[180:183], a[86:87], v[118:119], v[180:183]// 00000000C4F4: D3F300B4 0ED2ED56
	v_mfma_f32_16x16x32_fp8_fp8 v[180:183], a[88:89], v[120:121], v[180:183]// 00000000C4FC: D3F300B4 0ED2F158
	v_mfma_f32_16x16x32_fp8_fp8 v[180:183], a[90:91], v[122:123], v[180:183]// 00000000C504: D3F300B4 0ED2F55A
	v_mfma_f32_16x16x32_fp8_fp8 v[180:183], a[92:93], v[124:125], v[180:183]// 00000000C50C: D3F300B4 0ED2F95C
	v_mfma_f32_16x16x32_fp8_fp8 v[180:183], a[94:95], v[126:127], v[180:183]// 00000000C514: D3F300B4 0ED2FD5E
	v_mfma_f32_16x16x32_fp8_fp8 v[184:187], a[64:65], v[128:129], 0// 00000000C51C: D3F300B8 0A030140
	v_mfma_f32_16x16x32_fp8_fp8 v[184:187], a[66:67], v[130:131], v[184:187]// 00000000C524: D3F300B8 0EE30542
	v_mfma_f32_16x16x32_fp8_fp8 v[184:187], a[68:69], v[132:133], v[184:187]// 00000000C52C: D3F300B8 0EE30944
	v_mfma_f32_16x16x32_fp8_fp8 v[184:187], a[70:71], v[134:135], v[184:187]// 00000000C534: D3F300B8 0EE30D46
	v_mfma_f32_16x16x32_fp8_fp8 v[184:187], a[72:73], v[136:137], v[184:187]// 00000000C53C: D3F300B8 0EE31148
	v_mfma_f32_16x16x32_fp8_fp8 v[184:187], a[74:75], v[138:139], v[184:187]// 00000000C544: D3F300B8 0EE3154A
	v_mfma_f32_16x16x32_fp8_fp8 v[184:187], a[76:77], v[140:141], v[184:187]// 00000000C54C: D3F300B8 0EE3194C
	v_mfma_f32_16x16x32_fp8_fp8 v[184:187], a[78:79], v[142:143], v[184:187]// 00000000C554: D3F300B8 0EE31D4E
	v_mfma_f32_16x16x32_fp8_fp8 v[188:191], a[80:81], v[128:129], 0// 00000000C55C: D3F300BC 0A030150
	v_mfma_f32_16x16x32_fp8_fp8 v[188:191], a[82:83], v[130:131], v[188:191]// 00000000C564: D3F300BC 0EF30552
	v_mfma_f32_16x16x32_fp8_fp8 v[188:191], a[84:85], v[132:133], v[188:191]// 00000000C56C: D3F300BC 0EF30954
	v_mfma_f32_16x16x32_fp8_fp8 v[188:191], a[86:87], v[134:135], v[188:191]// 00000000C574: D3F300BC 0EF30D56
	v_mfma_f32_16x16x32_fp8_fp8 v[188:191], a[88:89], v[136:137], v[188:191]// 00000000C57C: D3F300BC 0EF31158
	v_mfma_f32_16x16x32_fp8_fp8 v[188:191], a[90:91], v[138:139], v[188:191]// 00000000C584: D3F300BC 0EF3155A
	v_mfma_f32_16x16x32_fp8_fp8 v[188:191], a[92:93], v[140:141], v[188:191]// 00000000C58C: D3F300BC 0EF3195C
	v_mfma_f32_16x16x32_fp8_fp8 v[188:191], a[94:95], v[142:143], v[188:191]// 00000000C594: D3F300BC 0EF31D5E
	s_nop 4                                                    // 00000000C59C: BF800004
	s_branch label_2DC3                                        // 00000000C5A0: BF8204DA

000000000000c5a4 <label_28E9>:
	s_waitcnt vmcnt(8) lgkmcnt(0)                              // 00000000C5A4: BF8C0078
	s_barrier                                                  // 00000000C5A8: BF8A0000
	v_mfma_f32_16x16x32_fp8_fp8 v[112:115], a[32:33], v[80:81], 0// 00000000C5AC: D3F30070 0A02A120
	v_mfma_f32_16x16x32_fp8_fp8 v[112:115], a[34:35], v[82:83], v[112:115]// 00000000C5B4: D3F30070 0DC2A522
	v_mfma_f32_16x16x32_fp8_fp8 v[112:115], a[36:37], v[84:85], v[112:115]// 00000000C5BC: D3F30070 0DC2A924
	v_mfma_f32_16x16x32_fp8_fp8 v[112:115], a[38:39], v[86:87], v[112:115]// 00000000C5C4: D3F30070 0DC2AD26
	v_mfma_f32_16x16x32_fp8_fp8 v[116:119], a[40:41], v[80:81], 0// 00000000C5CC: D3F30074 0A02A128
	v_mfma_f32_16x16x32_fp8_fp8 v[116:119], a[42:43], v[82:83], v[116:119]// 00000000C5D4: D3F30074 0DD2A52A
	v_mfma_f32_16x16x32_fp8_fp8 v[116:119], a[44:45], v[84:85], v[116:119]// 00000000C5DC: D3F30074 0DD2A92C
	v_mfma_f32_16x16x32_fp8_fp8 v[116:119], a[46:47], v[86:87], v[116:119]// 00000000C5E4: D3F30074 0DD2AD2E
	v_mfma_f32_16x16x32_fp8_fp8 v[120:123], a[48:49], v[80:81], 0// 00000000C5EC: D3F30078 0A02A130
	v_mfma_f32_16x16x32_fp8_fp8 v[120:123], a[50:51], v[82:83], v[120:123]// 00000000C5F4: D3F30078 0DE2A532
	v_mfma_f32_16x16x32_fp8_fp8 v[120:123], a[52:53], v[84:85], v[120:123]// 00000000C5FC: D3F30078 0DE2A934
	v_mfma_f32_16x16x32_fp8_fp8 v[120:123], a[54:55], v[86:87], v[120:123]// 00000000C604: D3F30078 0DE2AD36
	v_mfma_f32_16x16x32_fp8_fp8 v[124:127], a[56:57], v[80:81], 0// 00000000C60C: D3F3007C 0A02A138
	v_mfma_f32_16x16x32_fp8_fp8 v[124:127], a[58:59], v[82:83], v[124:127]// 00000000C614: D3F3007C 0DF2A53A
	v_mfma_f32_16x16x32_fp8_fp8 v[124:127], a[60:61], v[84:85], v[124:127]// 00000000C61C: D3F3007C 0DF2A93C
	v_mfma_f32_16x16x32_fp8_fp8 v[124:127], a[62:63], v[86:87], v[124:127]// 00000000C624: D3F3007C 0DF2AD3E
	v_mfma_f32_16x16x32_fp8_fp8 v[128:131], a[32:33], v[88:89], 0// 00000000C62C: D3F30080 0A02B120
	v_mfma_f32_16x16x32_fp8_fp8 v[128:131], a[34:35], v[90:91], v[128:131]// 00000000C634: D3F30080 0E02B522
	v_mfma_f32_16x16x32_fp8_fp8 v[128:131], a[36:37], v[92:93], v[128:131]// 00000000C63C: D3F30080 0E02B924
	v_mfma_f32_16x16x32_fp8_fp8 v[128:131], a[38:39], v[94:95], v[128:131]// 00000000C644: D3F30080 0E02BD26
	v_mfma_f32_16x16x32_fp8_fp8 v[132:135], a[40:41], v[88:89], 0// 00000000C64C: D3F30084 0A02B128
	v_mfma_f32_16x16x32_fp8_fp8 v[132:135], a[42:43], v[90:91], v[132:135]// 00000000C654: D3F30084 0E12B52A
	v_mfma_f32_16x16x32_fp8_fp8 v[132:135], a[44:45], v[92:93], v[132:135]// 00000000C65C: D3F30084 0E12B92C
	v_mfma_f32_16x16x32_fp8_fp8 v[132:135], a[46:47], v[94:95], v[132:135]// 00000000C664: D3F30084 0E12BD2E
	v_mfma_f32_16x16x32_fp8_fp8 v[136:139], a[48:49], v[88:89], 0// 00000000C66C: D3F30088 0A02B130
	v_mfma_f32_16x16x32_fp8_fp8 v[136:139], a[50:51], v[90:91], v[136:139]// 00000000C674: D3F30088 0E22B532
	v_mfma_f32_16x16x32_fp8_fp8 v[136:139], a[52:53], v[92:93], v[136:139]// 00000000C67C: D3F30088 0E22B934
	v_mfma_f32_16x16x32_fp8_fp8 v[136:139], a[54:55], v[94:95], v[136:139]// 00000000C684: D3F30088 0E22BD36
	v_mfma_f32_16x16x32_fp8_fp8 v[140:143], a[56:57], v[88:89], 0// 00000000C68C: D3F3008C 0A02B138
	v_mfma_f32_16x16x32_fp8_fp8 v[140:143], a[58:59], v[90:91], v[140:143]// 00000000C694: D3F3008C 0E32B53A
	v_mfma_f32_16x16x32_fp8_fp8 v[140:143], a[60:61], v[92:93], v[140:143]// 00000000C69C: D3F3008C 0E32B93C
	v_mfma_f32_16x16x32_fp8_fp8 v[140:143], a[62:63], v[94:95], v[140:143]// 00000000C6A4: D3F3008C 0E32BD3E
	v_mov_b32_dpp v64, v43 row_shr:4 row_mask:0xf bank_mask:0xf// 00000000C6AC: 7E8002FA FF01142B
	v_mov_b32_dpp v65, v43 row_shl:4 row_mask:0xf bank_mask:0xf// 00000000C6B4: 7E8202FA FF01042B
	v_cndmask_b32_e64 v248, v43, v64, s[44:45]                 // 00000000C6BC: D10000F8 00B2812B
	v_cndmask_b32_e64 v249, v65, v43, s[44:45]                 // 00000000C6C4: D10000F9 00B25741
	v_mov_b32_dpp v64, v248 row_shr:8 row_mask:0xf bank_mask:0xf// 00000000C6CC: 7E8002FA FF0118F8
	v_mov_b32_dpp v65, v248 row_shl:8 row_mask:0xf bank_mask:0xf// 00000000C6D4: 7E8202FA FF0108F8
	v_mov_b32_dpp v66, v249 row_shr:8 row_mask:0xf bank_mask:0xf// 00000000C6DC: 7E8402FA FF0118F9
	v_mov_b32_dpp v67, v249 row_shl:8 row_mask:0xf bank_mask:0xf// 00000000C6E4: 7E8602FA FF0108F9
	v_mov_b32_e32 v68, v248                                    // 00000000C6EC: 7E8803F8
	v_mov_b32_e32 v69, v249                                    // 00000000C6F0: 7E8A03F9
	v_cndmask_b32_e64 v248, v68, v64, s[42:43]                 // 00000000C6F4: D10000F8 00AA8144
	v_cndmask_b32_e64 v250, v68, v65, s[78:79]                 // 00000000C6FC: D10000FA 013A8344
	v_cndmask_b32_e64 v249, v69, v66, s[42:43]                 // 00000000C704: D10000F9 00AA8545
	v_cndmask_b32_e64 v251, v69, v67, s[78:79]                 // 00000000C70C: D10000FB 013A8745
	v_mov_b32_dpp v64, v58 row_shr:4 row_mask:0xf bank_mask:0xf// 00000000C714: 7E8002FA FF01143A
	v_mov_b32_dpp v65, v58 row_shl:4 row_mask:0xf bank_mask:0xf// 00000000C71C: 7E8202FA FF01043A
	v_cndmask_b32_e64 v252, v58, v64, s[44:45]                 // 00000000C724: D10000FC 00B2813A
	v_cndmask_b32_e64 v253, v65, v58, s[44:45]                 // 00000000C72C: D10000FD 00B27541
	v_mov_b32_dpp v64, v252 row_shr:8 row_mask:0xf bank_mask:0xf// 00000000C734: 7E8002FA FF0118FC
	v_mov_b32_dpp v65, v252 row_shl:8 row_mask:0xf bank_mask:0xf// 00000000C73C: 7E8202FA FF0108FC
	v_mov_b32_dpp v66, v253 row_shr:8 row_mask:0xf bank_mask:0xf// 00000000C744: 7E8402FA FF0118FD
	v_mov_b32_dpp v67, v253 row_shl:8 row_mask:0xf bank_mask:0xf// 00000000C74C: 7E8602FA FF0108FD
	v_mov_b32_e32 v68, v252                                    // 00000000C754: 7E8803FC
	v_mov_b32_e32 v69, v253                                    // 00000000C758: 7E8A03FD
	v_cndmask_b32_e64 v252, v68, v64, s[42:43]                 // 00000000C75C: D10000FC 00AA8144
	v_cndmask_b32_e64 v254, v68, v65, s[78:79]                 // 00000000C764: D10000FE 013A8344
	v_cndmask_b32_e64 v253, v69, v66, s[42:43]                 // 00000000C76C: D10000FD 00AA8545
	v_cndmask_b32_e64 v255, v69, v67, s[78:79]                 // 00000000C774: D10000FF 013A8745
	v_mul_f32_e32 v112, v18, v112                              // 00000000C77C: 0AE0E112
	v_mul_f32_e32 v113, v18, v113                              // 00000000C780: 0AE2E312
	v_mul_f32_e32 v114, v18, v114                              // 00000000C784: 0AE4E512
	v_mul_f32_e32 v115, v18, v115                              // 00000000C788: 0AE6E712
	v_mul_f32_e32 v116, v18, v116                              // 00000000C78C: 0AE8E912
	v_mul_f32_e32 v117, v18, v117                              // 00000000C790: 0AEAEB12
	v_mul_f32_e32 v118, v18, v118                              // 00000000C794: 0AECED12
	v_mul_f32_e32 v119, v18, v119                              // 00000000C798: 0AEEEF12
	v_mul_f32_e32 v120, v18, v120                              // 00000000C79C: 0AF0F112
	v_mul_f32_e32 v121, v18, v121                              // 00000000C7A0: 0AF2F312
	v_mul_f32_e32 v122, v18, v122                              // 00000000C7A4: 0AF4F512
	v_mul_f32_e32 v123, v18, v123                              // 00000000C7A8: 0AF6F712
	v_mul_f32_e32 v124, v18, v124                              // 00000000C7AC: 0AF8F912
	v_mul_f32_e32 v125, v18, v125                              // 00000000C7B0: 0AFAFB12
	v_mul_f32_e32 v126, v18, v126                              // 00000000C7B4: 0AFCFD12
	v_mul_f32_e32 v127, v18, v127                              // 00000000C7B8: 0AFEFF12
	v_mul_f32_dpp v112, v248, v112 quad_perm:[0,0,0,0] row_mask:0xf bank_mask:0xf// 00000000C7BC: 0AE0E0FA FF0000F8
	v_mul_f32_dpp v113, v248, v113 quad_perm:[1,1,1,1] row_mask:0xf bank_mask:0xf// 00000000C7C4: 0AE2E2FA FF0055F8
	v_mul_f32_dpp v114, v248, v114 quad_perm:[2,2,2,2] row_mask:0xf bank_mask:0xf// 00000000C7CC: 0AE4E4FA FF00AAF8
	v_mul_f32_dpp v115, v248, v115 quad_perm:[3,3,3,3] row_mask:0xf bank_mask:0xf// 00000000C7D4: 0AE6E6FA FF00FFF8
	v_mul_f32_dpp v116, v249, v116 quad_perm:[0,0,0,0] row_mask:0xf bank_mask:0xf// 00000000C7DC: 0AE8E8FA FF0000F9
	v_mul_f32_dpp v117, v249, v117 quad_perm:[1,1,1,1] row_mask:0xf bank_mask:0xf// 00000000C7E4: 0AEAEAFA FF0055F9
	v_mul_f32_dpp v118, v249, v118 quad_perm:[2,2,2,2] row_mask:0xf bank_mask:0xf// 00000000C7EC: 0AECECFA FF00AAF9
	v_mul_f32_dpp v119, v249, v119 quad_perm:[3,3,3,3] row_mask:0xf bank_mask:0xf// 00000000C7F4: 0AEEEEFA FF00FFF9
	v_mul_f32_dpp v120, v250, v120 quad_perm:[0,0,0,0] row_mask:0xf bank_mask:0xf// 00000000C7FC: 0AF0F0FA FF0000FA
	v_mul_f32_dpp v121, v250, v121 quad_perm:[1,1,1,1] row_mask:0xf bank_mask:0xf// 00000000C804: 0AF2F2FA FF0055FA
	v_mul_f32_dpp v122, v250, v122 quad_perm:[2,2,2,2] row_mask:0xf bank_mask:0xf// 00000000C80C: 0AF4F4FA FF00AAFA
	v_mul_f32_dpp v123, v250, v123 quad_perm:[3,3,3,3] row_mask:0xf bank_mask:0xf// 00000000C814: 0AF6F6FA FF00FFFA
	v_mul_f32_dpp v124, v251, v124 quad_perm:[0,0,0,0] row_mask:0xf bank_mask:0xf// 00000000C81C: 0AF8F8FA FF0000FB
	v_mul_f32_dpp v125, v251, v125 quad_perm:[1,1,1,1] row_mask:0xf bank_mask:0xf// 00000000C824: 0AFAFAFA FF0055FB
	v_mul_f32_dpp v126, v251, v126 quad_perm:[2,2,2,2] row_mask:0xf bank_mask:0xf// 00000000C82C: 0AFCFCFA FF00AAFB
	v_mul_f32_dpp v127, v251, v127 quad_perm:[3,3,3,3] row_mask:0xf bank_mask:0xf// 00000000C834: 0AFEFEFA FF00FFFB
	s_and_b32 s60, s72, 0xff                                   // 00000000C83C: 863CFF48 000000FF
	v_mov_b32_e32 v65, s60                                     // 00000000C844: 7E82023C
	v_lshrrev_b32_e32 v240, 4, v0                              // 00000000C848: 21E00084
	v_mul_i32_i24_e32 v240, 4, v240                            // 00000000C84C: 0DE1E084
	s_mul_i32 s60, s7, 16                                      // 00000000C850: 923C9007
	v_add_u32_e32 v240, s60, v240                              // 00000000C854: 69E1E03C
	v_add_u32_e32 v241, 1, v240                                // 00000000C858: 69E3E081
	v_add_u32_e32 v242, 2, v240                                // 00000000C85C: 69E5E082
	v_add_u32_e32 v243, 3, v240                                // 00000000C860: 69E7E083
	v_mov_b32_e32 v64, 0xff800000                              // 00000000C864: 7E8002FF FF800000
	v_cmp_lt_u32_e64 s[40:41], v240, v65                       // 00000000C86C: D0C90028 000283F0
	v_add_u32_e32 v240, 64, v240                               // 00000000C874: 69E1E0C0
	s_nop 0                                                    // 00000000C878: BF800000
	v_cndmask_b32_e64 v112, v64, v112, s[40:41]                // 00000000C87C: D1000070 00A2E140
	v_cmp_lt_u32_e64 s[40:41], v241, v65                       // 00000000C884: D0C90028 000283F1
	v_add_u32_e32 v241, 64, v241                               // 00000000C88C: 69E3E2C0
	s_nop 0                                                    // 00000000C890: BF800000
	v_cndmask_b32_e64 v113, v64, v113, s[40:41]                // 00000000C894: D1000071 00A2E340
	v_cmp_lt_u32_e64 s[40:41], v242, v65                       // 00000000C89C: D0C90028 000283F2
	v_add_u32_e32 v242, 64, v242                               // 00000000C8A4: 69E5E4C0
	s_nop 0                                                    // 00000000C8A8: BF800000
	v_cndmask_b32_e64 v114, v64, v114, s[40:41]                // 00000000C8AC: D1000072 00A2E540
	v_cmp_lt_u32_e64 s[40:41], v243, v65                       // 00000000C8B4: D0C90028 000283F3
	v_add_u32_e32 v243, 64, v243                               // 00000000C8BC: 69E7E6C0
	s_nop 0                                                    // 00000000C8C0: BF800000
	v_cndmask_b32_e64 v115, v64, v115, s[40:41]                // 00000000C8C4: D1000073 00A2E740
	v_cmp_lt_u32_e64 s[40:41], v240, v65                       // 00000000C8CC: D0C90028 000283F0
	v_add_u32_e32 v240, 64, v240                               // 00000000C8D4: 69E1E0C0
	s_nop 0                                                    // 00000000C8D8: BF800000
	v_cndmask_b32_e64 v116, v64, v116, s[40:41]                // 00000000C8DC: D1000074 00A2E940
	v_cmp_lt_u32_e64 s[40:41], v241, v65                       // 00000000C8E4: D0C90028 000283F1
	v_add_u32_e32 v241, 64, v241                               // 00000000C8EC: 69E3E2C0
	s_nop 0                                                    // 00000000C8F0: BF800000
	v_cndmask_b32_e64 v117, v64, v117, s[40:41]                // 00000000C8F4: D1000075 00A2EB40
	v_cmp_lt_u32_e64 s[40:41], v242, v65                       // 00000000C8FC: D0C90028 000283F2
	v_add_u32_e32 v242, 64, v242                               // 00000000C904: 69E5E4C0
	s_nop 0                                                    // 00000000C908: BF800000
	v_cndmask_b32_e64 v118, v64, v118, s[40:41]                // 00000000C90C: D1000076 00A2ED40
	v_cmp_lt_u32_e64 s[40:41], v243, v65                       // 00000000C914: D0C90028 000283F3
	v_add_u32_e32 v243, 64, v243                               // 00000000C91C: 69E7E6C0
	s_nop 0                                                    // 00000000C920: BF800000
	v_cndmask_b32_e64 v119, v64, v119, s[40:41]                // 00000000C924: D1000077 00A2EF40
	v_cmp_lt_u32_e64 s[40:41], v240, v65                       // 00000000C92C: D0C90028 000283F0
	v_add_u32_e32 v240, 64, v240                               // 00000000C934: 69E1E0C0
	s_nop 0                                                    // 00000000C938: BF800000
	v_cndmask_b32_e64 v120, v64, v120, s[40:41]                // 00000000C93C: D1000078 00A2F140
	v_cmp_lt_u32_e64 s[40:41], v241, v65                       // 00000000C944: D0C90028 000283F1
	v_add_u32_e32 v241, 64, v241                               // 00000000C94C: 69E3E2C0
	s_nop 0                                                    // 00000000C950: BF800000
	v_cndmask_b32_e64 v121, v64, v121, s[40:41]                // 00000000C954: D1000079 00A2F340
	v_cmp_lt_u32_e64 s[40:41], v242, v65                       // 00000000C95C: D0C90028 000283F2
	v_add_u32_e32 v242, 64, v242                               // 00000000C964: 69E5E4C0
	s_nop 0                                                    // 00000000C968: BF800000
	v_cndmask_b32_e64 v122, v64, v122, s[40:41]                // 00000000C96C: D100007A 00A2F540
	v_cmp_lt_u32_e64 s[40:41], v243, v65                       // 00000000C974: D0C90028 000283F3
	v_add_u32_e32 v243, 64, v243                               // 00000000C97C: 69E7E6C0
	s_nop 0                                                    // 00000000C980: BF800000
	v_cndmask_b32_e64 v123, v64, v123, s[40:41]                // 00000000C984: D100007B 00A2F740
	v_cmp_lt_u32_e64 s[40:41], v240, v65                       // 00000000C98C: D0C90028 000283F0
	v_add_u32_e32 v240, 64, v240                               // 00000000C994: 69E1E0C0
	s_nop 0                                                    // 00000000C998: BF800000
	v_cndmask_b32_e64 v124, v64, v124, s[40:41]                // 00000000C99C: D100007C 00A2F940
	v_cmp_lt_u32_e64 s[40:41], v241, v65                       // 00000000C9A4: D0C90028 000283F1
	v_add_u32_e32 v241, 64, v241                               // 00000000C9AC: 69E3E2C0
	s_nop 0                                                    // 00000000C9B0: BF800000
	v_cndmask_b32_e64 v125, v64, v125, s[40:41]                // 00000000C9B4: D100007D 00A2FB40
	v_cmp_lt_u32_e64 s[40:41], v242, v65                       // 00000000C9BC: D0C90028 000283F2
	v_add_u32_e32 v242, 64, v242                               // 00000000C9C4: 69E5E4C0
	s_nop 0                                                    // 00000000C9C8: BF800000
	v_cndmask_b32_e64 v126, v64, v126, s[40:41]                // 00000000C9CC: D100007E 00A2FD40
	v_cmp_lt_u32_e64 s[40:41], v243, v65                       // 00000000C9D4: D0C90028 000283F3
	v_add_u32_e32 v243, 64, v243                               // 00000000C9DC: 69E7E6C0
	s_nop 0                                                    // 00000000C9E0: BF800000
	v_cndmask_b32_e64 v127, v64, v127, s[40:41]                // 00000000C9E4: D100007F 00A2FF40
	v_mov_b32_e32 v48, v112                                    // 00000000C9EC: 7E600370
	v_max3_f32 v48, v112, v113, v48                            // 00000000C9F0: D1D30030 04C2E370
	v_max3_f32 v48, v114, v115, v48                            // 00000000C9F8: D1D30030 04C2E772
	v_max3_f32 v48, v116, v117, v48                            // 00000000CA00: D1D30030 04C2EB74
	v_max3_f32 v48, v118, v119, v48                            // 00000000CA08: D1D30030 04C2EF76
	v_max3_f32 v48, v120, v121, v48                            // 00000000CA10: D1D30030 04C2F378
	v_max3_f32 v48, v122, v123, v48                            // 00000000CA18: D1D30030 04C2F77A
	v_max3_f32 v48, v124, v125, v48                            // 00000000CA20: D1D30030 04C2FB7C
	v_max3_f32 v48, v126, v127, v48                            // 00000000CA28: D1D30030 04C2FF7E
	ds_write_b32 v8, v48 offset:16896                          // 00000000CA30: D81A4200 00003008
	v_mul_u32_u24_dpp v64, v16, v54 row_newbcast:1 row_mask:0xf bank_mask:0xf// 00000000CA38: 10806CFA FF015110
	v_mul_u32_u24_dpp v65, v16, v54 row_newbcast:5 row_mask:0xf bank_mask:0xf// 00000000CA40: 10826CFA FF015510
	v_mul_u32_u24_dpp v66, v16, v54 row_newbcast:9 row_mask:0xf bank_mask:0xf// 00000000CA48: 10846CFA FF015910
	v_mul_u32_u24_dpp v67, v16, v54 row_newbcast:13 row_mask:0xf bank_mask:0xf// 00000000CA50: 10866CFA FF015D10
	v_add_u32_e32 v30, v64, v6                                 // 00000000CA58: 683C0D40
	v_add_u32_e32 v31, v65, v6                                 // 00000000CA5C: 683E0D41
	v_add_u32_e32 v32, v66, v6                                 // 00000000CA60: 68400D42
	v_add_u32_e32 v33, v67, v6                                 // 00000000CA64: 68420D43
	v_mul_f32_e32 v208, v49, v208                              // 00000000CA68: 0BA1A131
	v_mul_f32_e32 v209, v49, v209                              // 00000000CA6C: 0BA3A331
	v_mul_f32_e32 v210, v49, v210                              // 00000000CA70: 0BA5A531
	v_mul_f32_e32 v211, v49, v211                              // 00000000CA74: 0BA7A731
	v_mul_f32_e32 v212, v49, v212                              // 00000000CA78: 0BA9A931
	v_mul_f32_e32 v213, v49, v213                              // 00000000CA7C: 0BABAB31
	v_mul_f32_e32 v214, v49, v214                              // 00000000CA80: 0BADAD31
	v_mul_f32_e32 v215, v49, v215                              // 00000000CA84: 0BAFAF31
	s_waitcnt lgkmcnt(0)                                       // 00000000CA88: BF8CC07F
	s_barrier                                                  // 00000000CA8C: BF8A0000
	ds_read_b32 v64, v7 offset:16896                           // 00000000CA90: D86C4200 40000007
	ds_read_b32 v65, v7 offset:16960                           // 00000000CA98: D86C4240 41000007
	ds_read_b32 v66, v7 offset:17024                           // 00000000CAA0: D86C4280 42000007
	ds_read_b32 v67, v7 offset:17088                           // 00000000CAA8: D86C42C0 43000007
	ds_read_b32 v68, v7 offset:17152                           // 00000000CAB0: D86C4300 44000007
	ds_read_b32 v69, v7 offset:17216                           // 00000000CAB8: D86C4340 45000007
	ds_read_b32 v70, v7 offset:17280                           // 00000000CAC0: D86C4380 46000007
	ds_read_b32 v71, v7 offset:17344                           // 00000000CAC8: D86C43C0 47000007
	ds_read_b32 v72, v7 offset:17408                           // 00000000CAD0: D86C4400 48000007
	ds_read_b32 v73, v7 offset:17472                           // 00000000CAD8: D86C4440 49000007
	ds_read_b32 v74, v7 offset:17536                           // 00000000CAE0: D86C4480 4A000007
	ds_read_b32 v75, v7 offset:17600                           // 00000000CAE8: D86C44C0 4B000007
	ds_read_b32 v76, v7 offset:17664                           // 00000000CAF0: D86C4500 4C000007
	ds_read_b32 v77, v7 offset:17728                           // 00000000CAF8: D86C4540 4D000007
	ds_read_b32 v78, v7 offset:17792                           // 00000000CB00: D86C4580 4E000007
	ds_read_b32 v79, v7 offset:17856                           // 00000000CB08: D86C45C0 4F000007
	v_mul_f32_e32 v176, v44, v176                              // 00000000CB10: 0B61612C
	v_mul_f32_e32 v177, v44, v177                              // 00000000CB14: 0B63632C
	v_mul_f32_e32 v178, v44, v178                              // 00000000CB18: 0B65652C
	v_mul_f32_e32 v179, v44, v179                              // 00000000CB1C: 0B67672C
	v_mul_f32_e32 v180, v44, v180                              // 00000000CB20: 0B69692C
	v_mul_f32_e32 v181, v44, v181                              // 00000000CB24: 0B6B6B2C
	v_mul_f32_e32 v182, v44, v182                              // 00000000CB28: 0B6D6D2C
	v_mul_f32_e32 v183, v44, v183                              // 00000000CB2C: 0B6F6F2C
	s_waitcnt lgkmcnt(0)                                       // 00000000CB30: BF8CC07F
	v_max3_f32 v48, v64, v65, v48                              // 00000000CB34: D1D30030 04C28340
	v_max3_f32 v48, v66, v67, v48                              // 00000000CB3C: D1D30030 04C28742
	v_max3_f32 v48, v68, v69, v48                              // 00000000CB44: D1D30030 04C28B44
	v_max3_f32 v48, v70, v71, v48                              // 00000000CB4C: D1D30030 04C28F46
	v_max3_f32 v48, v72, v73, v48                              // 00000000CB54: D1D30030 04C29348
	v_max3_f32 v48, v74, v75, v48                              // 00000000CB5C: D1D30030 04C2974A
	v_max3_f32 v48, v76, v77, v48                              // 00000000CB64: D1D30030 04C29B4C
	v_max3_f32 v48, v78, v79, v48                              // 00000000CB6C: D1D30030 04C29F4E
	v_mov_b32_e32 v64, 0xff800000                              // 00000000CB74: 7E8002FF FF800000
	v_cmp_eq_u32_e64 s[40:41], v64, v11                        // 00000000CB7C: D0CA0028 00021740
	s_nop 1                                                    // 00000000CB84: BF800001
	v_max_f32_e32 v15, v48, v11                                // 00000000CB88: 161E1730
	v_mul_f32_e32 v53, s64, v15                                // 00000000CB8C: 0A6A1E40
	v_fma_f32 v112, v112, s64, -v53                            // 00000000CB90: D1CB0070 84D48170
	v_fma_f32 v113, v113, s64, -v53                            // 00000000CB98: D1CB0071 84D48171
	v_fma_f32 v114, v114, s64, -v53                            // 00000000CBA0: D1CB0072 84D48172
	v_fma_f32 v115, v115, s64, -v53                            // 00000000CBA8: D1CB0073 84D48173
	v_fma_f32 v116, v116, s64, -v53                            // 00000000CBB0: D1CB0074 84D48174
	v_fma_f32 v117, v117, s64, -v53                            // 00000000CBB8: D1CB0075 84D48175
	v_fma_f32 v118, v118, s64, -v53                            // 00000000CBC0: D1CB0076 84D48176
	v_fma_f32 v119, v119, s64, -v53                            // 00000000CBC8: D1CB0077 84D48177
	v_fma_f32 v120, v120, s64, -v53                            // 00000000CBD0: D1CB0078 84D48178
	v_fma_f32 v121, v121, s64, -v53                            // 00000000CBD8: D1CB0079 84D48179
	v_fma_f32 v122, v122, s64, -v53                            // 00000000CBE0: D1CB007A 84D4817A
	v_fma_f32 v123, v123, s64, -v53                            // 00000000CBE8: D1CB007B 84D4817B
	v_fma_f32 v124, v124, s64, -v53                            // 00000000CBF0: D1CB007C 84D4817C
	v_fma_f32 v125, v125, s64, -v53                            // 00000000CBF8: D1CB007D 84D4817D
	v_fma_f32 v126, v126, s64, -v53                            // 00000000CC00: D1CB007E 84D4817E
	v_fma_f32 v127, v127, s64, -v53                            // 00000000CC08: D1CB007F 84D4817F
	v_exp_f32_e32 v112, v112                                   // 00000000CC10: 7EE04170
	v_exp_f32_e32 v113, v113                                   // 00000000CC14: 7EE24171
	v_exp_f32_e32 v114, v114                                   // 00000000CC18: 7EE44172
	v_exp_f32_e32 v115, v115                                   // 00000000CC1C: 7EE64173
	v_exp_f32_e32 v116, v116                                   // 00000000CC20: 7EE84174
	v_exp_f32_e32 v117, v117                                   // 00000000CC24: 7EEA4175
	v_exp_f32_e32 v118, v118                                   // 00000000CC28: 7EEC4176
	v_exp_f32_e32 v119, v119                                   // 00000000CC2C: 7EEE4177
	v_exp_f32_e32 v120, v120                                   // 00000000CC30: 7EF04178
	v_exp_f32_e32 v121, v121                                   // 00000000CC34: 7EF24179
	v_exp_f32_e32 v122, v122                                   // 00000000CC38: 7EF4417A
	v_exp_f32_e32 v123, v123                                   // 00000000CC3C: 7EF6417B
	v_exp_f32_e32 v124, v124                                   // 00000000CC40: 7EF8417C
	v_exp_f32_e32 v125, v125                                   // 00000000CC44: 7EFA417D
	v_exp_f32_e32 v126, v126                                   // 00000000CC48: 7EFC417E
	v_exp_f32_e32 v127, v127                                   // 00000000CC4C: 7EFE417F
	v_mul_f32_dpp v240, v252, v112 quad_perm:[0,0,0,0] row_mask:0xf bank_mask:0xf// 00000000CC50: 0BE0E0FA FF0000FC
	v_mul_f32_dpp v241, v252, v113 quad_perm:[1,1,1,1] row_mask:0xf bank_mask:0xf// 00000000CC58: 0BE2E2FA FF0055FC
	v_mul_f32_dpp v242, v252, v114 quad_perm:[2,2,2,2] row_mask:0xf bank_mask:0xf// 00000000CC60: 0BE4E4FA FF00AAFC
	v_mul_f32_dpp v243, v252, v115 quad_perm:[3,3,3,3] row_mask:0xf bank_mask:0xf// 00000000CC68: 0BE6E6FA FF00FFFC
	v_mul_f32_dpp v244, v253, v116 quad_perm:[0,0,0,0] row_mask:0xf bank_mask:0xf// 00000000CC70: 0BE8E8FA FF0000FD
	v_mul_f32_dpp v245, v253, v117 quad_perm:[1,1,1,1] row_mask:0xf bank_mask:0xf// 00000000CC78: 0BEAEAFA FF0055FD
	v_mul_f32_dpp v246, v253, v118 quad_perm:[2,2,2,2] row_mask:0xf bank_mask:0xf// 00000000CC80: 0BECECFA FF00AAFD
	v_mul_f32_dpp v247, v253, v119 quad_perm:[3,3,3,3] row_mask:0xf bank_mask:0xf// 00000000CC88: 0BEEEEFA FF00FFFD
	v_mul_f32_dpp v248, v254, v120 quad_perm:[0,0,0,0] row_mask:0xf bank_mask:0xf// 00000000CC90: 0BF0F0FA FF0000FE
	v_mul_f32_dpp v249, v254, v121 quad_perm:[1,1,1,1] row_mask:0xf bank_mask:0xf// 00000000CC98: 0BF2F2FA FF0055FE
	v_mul_f32_dpp v250, v254, v122 quad_perm:[2,2,2,2] row_mask:0xf bank_mask:0xf// 00000000CCA0: 0BF4F4FA FF00AAFE
	v_mul_f32_dpp v251, v254, v123 quad_perm:[3,3,3,3] row_mask:0xf bank_mask:0xf// 00000000CCA8: 0BF6F6FA FF00FFFE
	v_mul_f32_dpp v252, v255, v124 quad_perm:[0,0,0,0] row_mask:0xf bank_mask:0xf// 00000000CCB0: 0BF8F8FA FF0000FF
	v_mul_f32_dpp v253, v255, v125 quad_perm:[1,1,1,1] row_mask:0xf bank_mask:0xf// 00000000CCB8: 0BFAFAFA FF0055FF
	v_mul_f32_dpp v254, v255, v126 quad_perm:[2,2,2,2] row_mask:0xf bank_mask:0xf// 00000000CCC0: 0BFCFCFA FF00AAFF
	v_mul_f32_dpp v255, v255, v127 quad_perm:[3,3,3,3] row_mask:0xf bank_mask:0xf// 00000000CCC8: 0BFEFEFA FF00FFFF
	v_mov_b32_e32 v48, 0x358637bd                              // 00000000CCD0: 7E6002FF 358637BD
	v_max3_f32 v48, |v240|, |v241|, v48                        // 00000000CCD8: D1D30330 04C3E3F0
	v_max3_f32 v48, |v242|, |v243|, v48                        // 00000000CCE0: D1D30330 04C3E7F2
	v_max3_f32 v48, |v244|, |v245|, v48                        // 00000000CCE8: D1D30330 04C3EBF4
	v_max3_f32 v48, |v246|, |v247|, v48                        // 00000000CCF0: D1D30330 04C3EFF6
	v_max3_f32 v48, |v248|, |v249|, v48                        // 00000000CCF8: D1D30330 04C3F3F8
	v_max3_f32 v48, |v250|, |v251|, v48                        // 00000000CD00: D1D30330 04C3F7FA
	v_max3_f32 v48, |v252|, |v253|, v48                        // 00000000CD08: D1D30330 04C3FBFC
	v_max3_f32 v48, |v254|, |v255|, v48                        // 00000000CD10: D1D30330 04C3FFFE
	ds_write_b32 v8, v48 offset:20992                          // 00000000CD18: D81A5200 00003008
	v_sub_f32_e32 v49, v11, v15                                // 00000000CD20: 04621F0B
	v_cndmask_b32_e64 v49, v49, 0, s[40:41]                    // 00000000CD24: D1000031 00A10131
	v_mov_b32_e32 v11, v15                                     // 00000000CD2C: 7E16030F
	v_mul_f32_e32 v49, s64, v49                                // 00000000CD30: 0A626240
	v_exp_f32_e32 v49, v49                                     // 00000000CD34: 7E624131
	s_waitcnt lgkmcnt(0)                                       // 00000000CD38: BF8CC07F
	s_barrier                                                  // 00000000CD3C: BF8A0000
	ds_read_b32 v64, v7 offset:20992                           // 00000000CD40: D86C5200 40000007
	ds_read_b32 v65, v7 offset:21056                           // 00000000CD48: D86C5240 41000007
	ds_read_b32 v66, v7 offset:21120                           // 00000000CD50: D86C5280 42000007
	ds_read_b32 v67, v7 offset:21184                           // 00000000CD58: D86C52C0 43000007
	ds_read_b32 v68, v7 offset:21248                           // 00000000CD60: D86C5300 44000007
	ds_read_b32 v69, v7 offset:21312                           // 00000000CD68: D86C5340 45000007
	ds_read_b32 v70, v7 offset:21376                           // 00000000CD70: D86C5380 46000007
	ds_read_b32 v71, v7 offset:21440                           // 00000000CD78: D86C53C0 47000007
	ds_read_b32 v72, v7 offset:21504                           // 00000000CD80: D86C5400 48000007
	ds_read_b32 v73, v7 offset:21568                           // 00000000CD88: D86C5440 49000007
	ds_read_b32 v74, v7 offset:21632                           // 00000000CD90: D86C5480 4A000007
	ds_read_b32 v75, v7 offset:21696                           // 00000000CD98: D86C54C0 4B000007
	ds_read_b32 v76, v7 offset:21760                           // 00000000CDA0: D86C5500 4C000007
	ds_read_b32 v77, v7 offset:21824                           // 00000000CDA8: D86C5540 4D000007
	ds_read_b32 v78, v7 offset:21888                           // 00000000CDB0: D86C5580 4E000007
	ds_read_b32 v79, v7 offset:21952                           // 00000000CDB8: D86C55C0 4F000007
	v_mul_f32_e32 v38, v49, v38                                // 00000000CDC0: 0A4C4D31
	v_mov_b32_e32 v15, v112                                    // 00000000CDC4: 7E1E0370
	v_add_f32_e32 v15, v113, v15                               // 00000000CDC8: 021E1F71
	v_add_f32_e32 v15, v114, v15                               // 00000000CDCC: 021E1F72
	v_add_f32_e32 v15, v115, v15                               // 00000000CDD0: 021E1F73
	v_add_f32_e32 v15, v116, v15                               // 00000000CDD4: 021E1F74
	v_add_f32_e32 v15, v117, v15                               // 00000000CDD8: 021E1F75
	v_add_f32_e32 v15, v118, v15                               // 00000000CDDC: 021E1F76
	v_add_f32_e32 v15, v119, v15                               // 00000000CDE0: 021E1F77
	v_add_f32_e32 v15, v120, v15                               // 00000000CDE4: 021E1F78
	v_add_f32_e32 v15, v121, v15                               // 00000000CDE8: 021E1F79
	v_add_f32_e32 v15, v122, v15                               // 00000000CDEC: 021E1F7A
	v_add_f32_e32 v15, v123, v15                               // 00000000CDF0: 021E1F7B
	v_add_f32_e32 v15, v124, v15                               // 00000000CDF4: 021E1F7C
	v_add_f32_e32 v15, v125, v15                               // 00000000CDF8: 021E1F7D
	v_add_f32_e32 v15, v126, v15                               // 00000000CDFC: 021E1F7E
	v_add_f32_e32 v15, v127, v15                               // 00000000CE00: 021E1F7F
	v_add_f32_e32 v38, v15, v38                                // 00000000CE04: 024C4D0F
	s_waitcnt lgkmcnt(0)                                       // 00000000CE08: BF8CC07F
	v_max3_f32 v48, |v64|, |v65|, v48                          // 00000000CE0C: D1D30330 04C28340
	v_max3_f32 v48, |v66|, |v67|, v48                          // 00000000CE14: D1D30330 04C28742
	v_max3_f32 v48, |v68|, |v69|, v48                          // 00000000CE1C: D1D30330 04C28B44
	v_max3_f32 v48, |v70|, |v71|, v48                          // 00000000CE24: D1D30330 04C28F46
	v_max3_f32 v48, |v72|, |v73|, v48                          // 00000000CE2C: D1D30330 04C29348
	v_max3_f32 v48, |v74|, |v75|, v48                          // 00000000CE34: D1D30330 04C2974A
	v_max3_f32 v48, |v76|, |v77|, v48                          // 00000000CE3C: D1D30330 04C29B4C
	v_max3_f32 v48, |v78|, |v79|, v48                          // 00000000CE44: D1D30330 04C29F4E
	s_nop 2                                                    // 00000000CE4C: BF800002
	v_rcp_f32_e32 v48, v48                                     // 00000000CE50: 7E604530
	s_nop 1                                                    // 00000000CE54: BF800001
	v_mul_f32_e32 v48, 0x43e00000, v48                         // 00000000CE58: 0A6060FF 43E00000
	v_mul_f32_e32 v112, v48, v240                              // 00000000CE60: 0AE1E130
	v_mul_f32_e32 v113, v48, v241                              // 00000000CE64: 0AE3E330
	v_mul_f32_e32 v114, v48, v242                              // 00000000CE68: 0AE5E530
	v_mul_f32_e32 v115, v48, v243                              // 00000000CE6C: 0AE7E730
	v_mul_f32_e32 v116, v48, v244                              // 00000000CE70: 0AE9E930
	v_mul_f32_e32 v117, v48, v245                              // 00000000CE74: 0AEBEB30
	v_mul_f32_e32 v118, v48, v246                              // 00000000CE78: 0AEDED30
	v_mul_f32_e32 v119, v48, v247                              // 00000000CE7C: 0AEFEF30
	v_mul_f32_e32 v120, v48, v248                              // 00000000CE80: 0AF1F130
	v_mul_f32_e32 v121, v48, v249                              // 00000000CE84: 0AF3F330
	v_mul_f32_e32 v122, v48, v250                              // 00000000CE88: 0AF5F530
	v_mul_f32_e32 v123, v48, v251                              // 00000000CE8C: 0AF7F730
	v_mul_f32_e32 v124, v48, v252                              // 00000000CE90: 0AF9F930
	v_mul_f32_e32 v125, v48, v253                              // 00000000CE94: 0AFBFB30
	v_mul_f32_e32 v126, v48, v254                              // 00000000CE98: 0AFDFD30
	v_mul_f32_e32 v127, v48, v255                              // 00000000CE9C: 0AFFFF30
	v_cvt_pk_fp8_f32 v112, v112, v113                          // 00000000CEA0: D2A20070 0002E370
	v_cvt_pk_fp8_f32 v112, v114, v115 op_sel:[0,0,1]           // 00000000CEA8: D2A24070 0002E772
	v_cvt_pk_fp8_f32 v113, v116, v117                          // 00000000CEB0: D2A20071 0002EB74
	v_cvt_pk_fp8_f32 v113, v118, v119 op_sel:[0,0,1]           // 00000000CEB8: D2A24071 0002EF76
	v_cvt_pk_fp8_f32 v114, v120, v121                          // 00000000CEC0: D2A20072 0002F378
	v_cvt_pk_fp8_f32 v114, v122, v123 op_sel:[0,0,1]           // 00000000CEC8: D2A24072 0002F77A
	v_cvt_pk_fp8_f32 v115, v124, v125                          // 00000000CED0: D2A20073 0002FB7C
	v_cvt_pk_fp8_f32 v115, v126, v127 op_sel:[0,0,1]           // 00000000CED8: D2A24073 0002FF7E
	ds_write_b32 v10, v112 offset:25088                        // 00000000CEE0: D81A6200 0000700A
	ds_write_b32 v10, v113 offset:26112                        // 00000000CEE8: D81A6600 0000710A
	ds_write_b32 v10, v114 offset:27136                        // 00000000CEF0: D81A6A00 0000720A
	ds_write_b32 v10, v115 offset:28160                        // 00000000CEF8: D81A6E00 0000730A
	v_add_f32_e32 v208, v208, v176                             // 00000000CF00: 03A161D0
	v_add_f32_e32 v209, v209, v177                             // 00000000CF04: 03A363D1
	v_add_f32_e32 v210, v210, v178                             // 00000000CF08: 03A565D2
	v_add_f32_e32 v211, v211, v179                             // 00000000CF0C: 03A767D3
	v_add_f32_e32 v212, v212, v180                             // 00000000CF10: 03A969D4
	v_add_f32_e32 v213, v213, v181                             // 00000000CF14: 03AB6BD5
	v_add_f32_e32 v214, v214, v182                             // 00000000CF18: 03AD6DD6
	v_add_f32_e32 v215, v215, v183                             // 00000000CF1C: 03AF6FD7
	v_rcp_f32_e32 v44, v48                                     // 00000000CF20: 7E584530
	s_waitcnt lgkmcnt(0)                                       // 00000000CF24: BF8CC07F
	s_barrier                                                  // 00000000CF28: BF8A0000
	ds_read_b64 v[112:113], v9 offset:25088                    // 00000000CF2C: D8EC6200 70000009
	ds_read_b64 v[114:115], v9 offset:25216                    // 00000000CF34: D8EC6280 72000009
	ds_read_b64 v[116:117], v9 offset:26112                    // 00000000CF3C: D8EC6600 74000009
	ds_read_b64 v[118:119], v9 offset:26240                    // 00000000CF44: D8EC6680 76000009
	ds_read_b64 v[120:121], v9 offset:27136                    // 00000000CF4C: D8EC6A00 78000009
	ds_read_b64 v[122:123], v9 offset:27264                    // 00000000CF54: D8EC6A80 7A000009
	ds_read_b64 v[124:125], v9 offset:28160                    // 00000000CF5C: D8EC6E00 7C000009
	ds_read_b64 v[126:127], v9 offset:28288                    // 00000000CF64: D8EC6E80 7E000009
	v_mov_b32_dpp v64, v43 row_shr:4 row_mask:0xf bank_mask:0xf// 00000000CF6C: 7E8002FA FF01142B
	v_mov_b32_dpp v65, v43 row_shl:4 row_mask:0xf bank_mask:0xf// 00000000CF74: 7E8202FA FF01042B
	v_cndmask_b32_e64 v248, v43, v64, s[44:45]                 // 00000000CF7C: D10000F8 00B2812B
	v_cndmask_b32_e64 v249, v65, v43, s[44:45]                 // 00000000CF84: D10000F9 00B25741
	v_mov_b32_dpp v64, v248 row_shr:8 row_mask:0xf bank_mask:0xf// 00000000CF8C: 7E8002FA FF0118F8
	v_mov_b32_dpp v65, v248 row_shl:8 row_mask:0xf bank_mask:0xf// 00000000CF94: 7E8202FA FF0108F8
	v_mov_b32_dpp v66, v249 row_shr:8 row_mask:0xf bank_mask:0xf// 00000000CF9C: 7E8402FA FF0118F9
	v_mov_b32_dpp v67, v249 row_shl:8 row_mask:0xf bank_mask:0xf// 00000000CFA4: 7E8602FA FF0108F9
	v_mov_b32_e32 v68, v248                                    // 00000000CFAC: 7E8803F8
	v_mov_b32_e32 v69, v249                                    // 00000000CFB0: 7E8A03F9
	v_cndmask_b32_e64 v248, v68, v64, s[42:43]                 // 00000000CFB4: D10000F8 00AA8144
	v_cndmask_b32_e64 v250, v68, v65, s[78:79]                 // 00000000CFBC: D10000FA 013A8344
	v_cndmask_b32_e64 v249, v69, v66, s[42:43]                 // 00000000CFC4: D10000F9 00AA8545
	v_cndmask_b32_e64 v251, v69, v67, s[78:79]                 // 00000000CFCC: D10000FB 013A8745
	v_mov_b32_dpp v64, v58 row_shr:4 row_mask:0xf bank_mask:0xf// 00000000CFD4: 7E8002FA FF01143A
	v_mov_b32_dpp v65, v58 row_shl:4 row_mask:0xf bank_mask:0xf// 00000000CFDC: 7E8202FA FF01043A
	v_cndmask_b32_e64 v252, v58, v64, s[44:45]                 // 00000000CFE4: D10000FC 00B2813A
	v_cndmask_b32_e64 v253, v65, v58, s[44:45]                 // 00000000CFEC: D10000FD 00B27541
	v_mov_b32_dpp v64, v252 row_shr:8 row_mask:0xf bank_mask:0xf// 00000000CFF4: 7E8002FA FF0118FC
	v_mov_b32_dpp v65, v252 row_shl:8 row_mask:0xf bank_mask:0xf// 00000000CFFC: 7E8202FA FF0108FC
	v_mov_b32_dpp v66, v253 row_shr:8 row_mask:0xf bank_mask:0xf// 00000000D004: 7E8402FA FF0118FD
	v_mov_b32_dpp v67, v253 row_shl:8 row_mask:0xf bank_mask:0xf// 00000000D00C: 7E8602FA FF0108FD
	v_mov_b32_e32 v68, v252                                    // 00000000D014: 7E8803FC
	v_mov_b32_e32 v69, v253                                    // 00000000D018: 7E8A03FD
	v_cndmask_b32_e64 v252, v68, v64, s[42:43]                 // 00000000D01C: D10000FC 00AA8144
	v_cndmask_b32_e64 v254, v68, v65, s[78:79]                 // 00000000D024: D10000FE 013A8344
	v_cndmask_b32_e64 v253, v69, v66, s[42:43]                 // 00000000D02C: D10000FD 00AA8545
	v_cndmask_b32_e64 v255, v69, v67, s[78:79]                 // 00000000D034: D10000FF 013A8745
	v_mul_f32_e32 v128, v19, v128                              // 00000000D03C: 0B010113
	v_mul_f32_e32 v129, v19, v129                              // 00000000D040: 0B030313
	v_mul_f32_e32 v130, v19, v130                              // 00000000D044: 0B050513
	v_mul_f32_e32 v131, v19, v131                              // 00000000D048: 0B070713
	v_mul_f32_e32 v132, v19, v132                              // 00000000D04C: 0B090913
	v_mul_f32_e32 v133, v19, v133                              // 00000000D050: 0B0B0B13
	v_mul_f32_e32 v134, v19, v134                              // 00000000D054: 0B0D0D13
	v_mul_f32_e32 v135, v19, v135                              // 00000000D058: 0B0F0F13
	v_mul_f32_e32 v136, v19, v136                              // 00000000D05C: 0B111113
	v_mul_f32_e32 v137, v19, v137                              // 00000000D060: 0B131313
	v_mul_f32_e32 v138, v19, v138                              // 00000000D064: 0B151513
	v_mul_f32_e32 v139, v19, v139                              // 00000000D068: 0B171713
	v_mul_f32_e32 v140, v19, v140                              // 00000000D06C: 0B191913
	v_mul_f32_e32 v141, v19, v141                              // 00000000D070: 0B1B1B13
	v_mul_f32_e32 v142, v19, v142                              // 00000000D074: 0B1D1D13
	v_mul_f32_e32 v143, v19, v143                              // 00000000D078: 0B1F1F13
	v_mul_f32_dpp v128, v248, v128 quad_perm:[0,0,0,0] row_mask:0xf bank_mask:0xf// 00000000D07C: 0B0100FA FF0000F8
	v_mul_f32_dpp v129, v248, v129 quad_perm:[1,1,1,1] row_mask:0xf bank_mask:0xf// 00000000D084: 0B0302FA FF0055F8
	v_mul_f32_dpp v130, v248, v130 quad_perm:[2,2,2,2] row_mask:0xf bank_mask:0xf// 00000000D08C: 0B0504FA FF00AAF8
	v_mul_f32_dpp v131, v248, v131 quad_perm:[3,3,3,3] row_mask:0xf bank_mask:0xf// 00000000D094: 0B0706FA FF00FFF8
	v_mul_f32_dpp v132, v249, v132 quad_perm:[0,0,0,0] row_mask:0xf bank_mask:0xf// 00000000D09C: 0B0908FA FF0000F9
	v_mul_f32_dpp v133, v249, v133 quad_perm:[1,1,1,1] row_mask:0xf bank_mask:0xf// 00000000D0A4: 0B0B0AFA FF0055F9
	v_mul_f32_dpp v134, v249, v134 quad_perm:[2,2,2,2] row_mask:0xf bank_mask:0xf// 00000000D0AC: 0B0D0CFA FF00AAF9
	v_mul_f32_dpp v135, v249, v135 quad_perm:[3,3,3,3] row_mask:0xf bank_mask:0xf// 00000000D0B4: 0B0F0EFA FF00FFF9
	v_mul_f32_dpp v136, v250, v136 quad_perm:[0,0,0,0] row_mask:0xf bank_mask:0xf// 00000000D0BC: 0B1110FA FF0000FA
	v_mul_f32_dpp v137, v250, v137 quad_perm:[1,1,1,1] row_mask:0xf bank_mask:0xf// 00000000D0C4: 0B1312FA FF0055FA
	v_mul_f32_dpp v138, v250, v138 quad_perm:[2,2,2,2] row_mask:0xf bank_mask:0xf// 00000000D0CC: 0B1514FA FF00AAFA
	v_mul_f32_dpp v139, v250, v139 quad_perm:[3,3,3,3] row_mask:0xf bank_mask:0xf// 00000000D0D4: 0B1716FA FF00FFFA
	v_mul_f32_dpp v140, v251, v140 quad_perm:[0,0,0,0] row_mask:0xf bank_mask:0xf// 00000000D0DC: 0B1918FA FF0000FB
	v_mul_f32_dpp v141, v251, v141 quad_perm:[1,1,1,1] row_mask:0xf bank_mask:0xf// 00000000D0E4: 0B1B1AFA FF0055FB
	v_mul_f32_dpp v142, v251, v142 quad_perm:[2,2,2,2] row_mask:0xf bank_mask:0xf// 00000000D0EC: 0B1D1CFA FF00AAFB
	v_mul_f32_dpp v143, v251, v143 quad_perm:[3,3,3,3] row_mask:0xf bank_mask:0xf// 00000000D0F4: 0B1F1EFA FF00FFFB
	s_and_b32 s60, s72, 0xff                                   // 00000000D0FC: 863CFF48 000000FF
	v_mov_b32_e32 v65, s60                                     // 00000000D104: 7E82023C
	v_lshrrev_b32_e32 v240, 4, v0                              // 00000000D108: 21E00084
	v_mul_i32_i24_e32 v240, 4, v240                            // 00000000D10C: 0DE1E084
	s_mul_i32 s60, s7, 16                                      // 00000000D110: 923C9007
	v_add_u32_e32 v240, s60, v240                              // 00000000D114: 69E1E03C
	v_add_u32_e32 v241, 1, v240                                // 00000000D118: 69E3E081
	v_add_u32_e32 v242, 2, v240                                // 00000000D11C: 69E5E082
	v_add_u32_e32 v243, 3, v240                                // 00000000D120: 69E7E083
	v_mov_b32_e32 v64, 0xff800000                              // 00000000D124: 7E8002FF FF800000
	v_cmp_lt_u32_e64 s[40:41], v240, v65                       // 00000000D12C: D0C90028 000283F0
	v_add_u32_e32 v240, 64, v240                               // 00000000D134: 69E1E0C0
	s_nop 0                                                    // 00000000D138: BF800000
	v_cndmask_b32_e64 v128, v64, v128, s[40:41]                // 00000000D13C: D1000080 00A30140
	v_cmp_lt_u32_e64 s[40:41], v241, v65                       // 00000000D144: D0C90028 000283F1
	v_add_u32_e32 v241, 64, v241                               // 00000000D14C: 69E3E2C0
	s_nop 0                                                    // 00000000D150: BF800000
	v_cndmask_b32_e64 v129, v64, v129, s[40:41]                // 00000000D154: D1000081 00A30340
	v_cmp_lt_u32_e64 s[40:41], v242, v65                       // 00000000D15C: D0C90028 000283F2
	v_add_u32_e32 v242, 64, v242                               // 00000000D164: 69E5E4C0
	s_nop 0                                                    // 00000000D168: BF800000
	v_cndmask_b32_e64 v130, v64, v130, s[40:41]                // 00000000D16C: D1000082 00A30540
	v_cmp_lt_u32_e64 s[40:41], v243, v65                       // 00000000D174: D0C90028 000283F3
	v_add_u32_e32 v243, 64, v243                               // 00000000D17C: 69E7E6C0
	s_nop 0                                                    // 00000000D180: BF800000
	v_cndmask_b32_e64 v131, v64, v131, s[40:41]                // 00000000D184: D1000083 00A30740
	v_cmp_lt_u32_e64 s[40:41], v240, v65                       // 00000000D18C: D0C90028 000283F0
	v_add_u32_e32 v240, 64, v240                               // 00000000D194: 69E1E0C0
	s_nop 0                                                    // 00000000D198: BF800000
	v_cndmask_b32_e64 v132, v64, v132, s[40:41]                // 00000000D19C: D1000084 00A30940
	v_cmp_lt_u32_e64 s[40:41], v241, v65                       // 00000000D1A4: D0C90028 000283F1
	v_add_u32_e32 v241, 64, v241                               // 00000000D1AC: 69E3E2C0
	s_nop 0                                                    // 00000000D1B0: BF800000
	v_cndmask_b32_e64 v133, v64, v133, s[40:41]                // 00000000D1B4: D1000085 00A30B40
	v_cmp_lt_u32_e64 s[40:41], v242, v65                       // 00000000D1BC: D0C90028 000283F2
	v_add_u32_e32 v242, 64, v242                               // 00000000D1C4: 69E5E4C0
	s_nop 0                                                    // 00000000D1C8: BF800000
	v_cndmask_b32_e64 v134, v64, v134, s[40:41]                // 00000000D1CC: D1000086 00A30D40
	v_cmp_lt_u32_e64 s[40:41], v243, v65                       // 00000000D1D4: D0C90028 000283F3
	v_add_u32_e32 v243, 64, v243                               // 00000000D1DC: 69E7E6C0
	s_nop 0                                                    // 00000000D1E0: BF800000
	v_cndmask_b32_e64 v135, v64, v135, s[40:41]                // 00000000D1E4: D1000087 00A30F40
	v_cmp_lt_u32_e64 s[40:41], v240, v65                       // 00000000D1EC: D0C90028 000283F0
	v_add_u32_e32 v240, 64, v240                               // 00000000D1F4: 69E1E0C0
	s_nop 0                                                    // 00000000D1F8: BF800000
	v_cndmask_b32_e64 v136, v64, v136, s[40:41]                // 00000000D1FC: D1000088 00A31140
	v_cmp_lt_u32_e64 s[40:41], v241, v65                       // 00000000D204: D0C90028 000283F1
	v_add_u32_e32 v241, 64, v241                               // 00000000D20C: 69E3E2C0
	s_nop 0                                                    // 00000000D210: BF800000
	v_cndmask_b32_e64 v137, v64, v137, s[40:41]                // 00000000D214: D1000089 00A31340
	v_cmp_lt_u32_e64 s[40:41], v242, v65                       // 00000000D21C: D0C90028 000283F2
	v_add_u32_e32 v242, 64, v242                               // 00000000D224: 69E5E4C0
	s_nop 0                                                    // 00000000D228: BF800000
	v_cndmask_b32_e64 v138, v64, v138, s[40:41]                // 00000000D22C: D100008A 00A31540
	v_cmp_lt_u32_e64 s[40:41], v243, v65                       // 00000000D234: D0C90028 000283F3
	v_add_u32_e32 v243, 64, v243                               // 00000000D23C: 69E7E6C0
	s_nop 0                                                    // 00000000D240: BF800000
	v_cndmask_b32_e64 v139, v64, v139, s[40:41]                // 00000000D244: D100008B 00A31740
	v_cmp_lt_u32_e64 s[40:41], v240, v65                       // 00000000D24C: D0C90028 000283F0
	v_add_u32_e32 v240, 64, v240                               // 00000000D254: 69E1E0C0
	s_nop 0                                                    // 00000000D258: BF800000
	v_cndmask_b32_e64 v140, v64, v140, s[40:41]                // 00000000D25C: D100008C 00A31940
	v_cmp_lt_u32_e64 s[40:41], v241, v65                       // 00000000D264: D0C90028 000283F1
	v_add_u32_e32 v241, 64, v241                               // 00000000D26C: 69E3E2C0
	s_nop 0                                                    // 00000000D270: BF800000
	v_cndmask_b32_e64 v141, v64, v141, s[40:41]                // 00000000D274: D100008D 00A31B40
	v_cmp_lt_u32_e64 s[40:41], v242, v65                       // 00000000D27C: D0C90028 000283F2
	v_add_u32_e32 v242, 64, v242                               // 00000000D284: 69E5E4C0
	s_nop 0                                                    // 00000000D288: BF800000
	v_cndmask_b32_e64 v142, v64, v142, s[40:41]                // 00000000D28C: D100008E 00A31D40
	v_cmp_lt_u32_e64 s[40:41], v243, v65                       // 00000000D294: D0C90028 000283F3
	v_add_u32_e32 v243, 64, v243                               // 00000000D29C: 69E7E6C0
	s_nop 0                                                    // 00000000D2A0: BF800000
	v_cndmask_b32_e64 v143, v64, v143, s[40:41]                // 00000000D2A4: D100008F 00A31F40
	v_mov_b32_e32 v48, v128                                    // 00000000D2AC: 7E600380
	v_max3_f32 v48, v128, v129, v48                            // 00000000D2B0: D1D30030 04C30380
	v_max3_f32 v48, v130, v131, v48                            // 00000000D2B8: D1D30030 04C30782
	v_max3_f32 v48, v132, v133, v48                            // 00000000D2C0: D1D30030 04C30B84
	v_max3_f32 v48, v134, v135, v48                            // 00000000D2C8: D1D30030 04C30F86
	v_max3_f32 v48, v136, v137, v48                            // 00000000D2D0: D1D30030 04C31388
	v_max3_f32 v48, v138, v139, v48                            // 00000000D2D8: D1D30030 04C3178A
	v_max3_f32 v48, v140, v141, v48                            // 00000000D2E0: D1D30030 04C31B8C
	v_max3_f32 v48, v142, v143, v48                            // 00000000D2E8: D1D30030 04C31F8E
	ds_write_b32 v8, v48 offset:16896                          // 00000000D2F0: D81A4200 00003008
	v_mul_f32_e32 v216, v50, v216                              // 00000000D2F8: 0BB1B132
	v_mul_f32_e32 v217, v50, v217                              // 00000000D2FC: 0BB3B332
	v_mul_f32_e32 v218, v50, v218                              // 00000000D300: 0BB5B532
	v_mul_f32_e32 v219, v50, v219                              // 00000000D304: 0BB7B732
	v_mul_f32_e32 v220, v50, v220                              // 00000000D308: 0BB9B932
	v_mul_f32_e32 v221, v50, v221                              // 00000000D30C: 0BBBBB32
	v_mul_f32_e32 v222, v50, v222                              // 00000000D310: 0BBDBD32
	v_mul_f32_e32 v223, v50, v223                              // 00000000D314: 0BBFBF32
	s_waitcnt lgkmcnt(0)                                       // 00000000D318: BF8CC07F
	s_barrier                                                  // 00000000D31C: BF8A0000
	ds_read_b32 v64, v7 offset:16896                           // 00000000D320: D86C4200 40000007
	ds_read_b32 v65, v7 offset:16960                           // 00000000D328: D86C4240 41000007
	ds_read_b32 v66, v7 offset:17024                           // 00000000D330: D86C4280 42000007
	ds_read_b32 v67, v7 offset:17088                           // 00000000D338: D86C42C0 43000007
	ds_read_b32 v68, v7 offset:17152                           // 00000000D340: D86C4300 44000007
	ds_read_b32 v69, v7 offset:17216                           // 00000000D348: D86C4340 45000007
	ds_read_b32 v70, v7 offset:17280                           // 00000000D350: D86C4380 46000007
	ds_read_b32 v71, v7 offset:17344                           // 00000000D358: D86C43C0 47000007
	ds_read_b32 v72, v7 offset:17408                           // 00000000D360: D86C4400 48000007
	ds_read_b32 v73, v7 offset:17472                           // 00000000D368: D86C4440 49000007
	ds_read_b32 v74, v7 offset:17536                           // 00000000D370: D86C4480 4A000007
	ds_read_b32 v75, v7 offset:17600                           // 00000000D378: D86C44C0 4B000007
	ds_read_b32 v76, v7 offset:17664                           // 00000000D380: D86C4500 4C000007
	ds_read_b32 v77, v7 offset:17728                           // 00000000D388: D86C4540 4D000007
	ds_read_b32 v78, v7 offset:17792                           // 00000000D390: D86C4580 4E000007
	ds_read_b32 v79, v7 offset:17856                           // 00000000D398: D86C45C0 4F000007
	v_mul_f32_e32 v184, v45, v184                              // 00000000D3A0: 0B71712D
	v_mul_f32_e32 v185, v45, v185                              // 00000000D3A4: 0B73732D
	v_mul_f32_e32 v186, v45, v186                              // 00000000D3A8: 0B75752D
	v_mul_f32_e32 v187, v45, v187                              // 00000000D3AC: 0B77772D
	v_mul_f32_e32 v188, v45, v188                              // 00000000D3B0: 0B79792D
	v_mul_f32_e32 v189, v45, v189                              // 00000000D3B4: 0B7B7B2D
	v_mul_f32_e32 v190, v45, v190                              // 00000000D3B8: 0B7D7D2D
	v_mul_f32_e32 v191, v45, v191                              // 00000000D3BC: 0B7F7F2D
	s_waitcnt lgkmcnt(0)                                       // 00000000D3C0: BF8CC07F
	v_max3_f32 v48, v64, v65, v48                              // 00000000D3C4: D1D30030 04C28340
	v_max3_f32 v48, v66, v67, v48                              // 00000000D3CC: D1D30030 04C28742
	v_max3_f32 v48, v68, v69, v48                              // 00000000D3D4: D1D30030 04C28B44
	v_max3_f32 v48, v70, v71, v48                              // 00000000D3DC: D1D30030 04C28F46
	v_max3_f32 v48, v72, v73, v48                              // 00000000D3E4: D1D30030 04C29348
	v_max3_f32 v48, v74, v75, v48                              // 00000000D3EC: D1D30030 04C2974A
	v_max3_f32 v48, v76, v77, v48                              // 00000000D3F4: D1D30030 04C29B4C
	v_max3_f32 v48, v78, v79, v48                              // 00000000D3FC: D1D30030 04C29F4E
	v_mov_b32_e32 v64, 0xff800000                              // 00000000D404: 7E8002FF FF800000
	v_cmp_eq_u32_e64 s[40:41], v64, v12                        // 00000000D40C: D0CA0028 00021940
	s_nop 1                                                    // 00000000D414: BF800001
	v_max_f32_e32 v15, v48, v12                                // 00000000D418: 161E1930
	v_mul_f32_e32 v53, s64, v15                                // 00000000D41C: 0A6A1E40
	v_fma_f32 v128, v128, s64, -v53                            // 00000000D420: D1CB0080 84D48180
	v_fma_f32 v129, v129, s64, -v53                            // 00000000D428: D1CB0081 84D48181
	v_fma_f32 v130, v130, s64, -v53                            // 00000000D430: D1CB0082 84D48182
	v_fma_f32 v131, v131, s64, -v53                            // 00000000D438: D1CB0083 84D48183
	v_fma_f32 v132, v132, s64, -v53                            // 00000000D440: D1CB0084 84D48184
	v_fma_f32 v133, v133, s64, -v53                            // 00000000D448: D1CB0085 84D48185
	v_fma_f32 v134, v134, s64, -v53                            // 00000000D450: D1CB0086 84D48186
	v_fma_f32 v135, v135, s64, -v53                            // 00000000D458: D1CB0087 84D48187
	v_fma_f32 v136, v136, s64, -v53                            // 00000000D460: D1CB0088 84D48188
	v_fma_f32 v137, v137, s64, -v53                            // 00000000D468: D1CB0089 84D48189
	v_fma_f32 v138, v138, s64, -v53                            // 00000000D470: D1CB008A 84D4818A
	v_fma_f32 v139, v139, s64, -v53                            // 00000000D478: D1CB008B 84D4818B
	v_fma_f32 v140, v140, s64, -v53                            // 00000000D480: D1CB008C 84D4818C
	v_fma_f32 v141, v141, s64, -v53                            // 00000000D488: D1CB008D 84D4818D
	v_fma_f32 v142, v142, s64, -v53                            // 00000000D490: D1CB008E 84D4818E
	v_fma_f32 v143, v143, s64, -v53                            // 00000000D498: D1CB008F 84D4818F
	v_exp_f32_e32 v128, v128                                   // 00000000D4A0: 7F004180
	v_exp_f32_e32 v129, v129                                   // 00000000D4A4: 7F024181
	v_exp_f32_e32 v130, v130                                   // 00000000D4A8: 7F044182
	v_exp_f32_e32 v131, v131                                   // 00000000D4AC: 7F064183
	v_exp_f32_e32 v132, v132                                   // 00000000D4B0: 7F084184
	v_exp_f32_e32 v133, v133                                   // 00000000D4B4: 7F0A4185
	v_exp_f32_e32 v134, v134                                   // 00000000D4B8: 7F0C4186
	v_exp_f32_e32 v135, v135                                   // 00000000D4BC: 7F0E4187
	v_exp_f32_e32 v136, v136                                   // 00000000D4C0: 7F104188
	v_exp_f32_e32 v137, v137                                   // 00000000D4C4: 7F124189
	v_exp_f32_e32 v138, v138                                   // 00000000D4C8: 7F14418A
	v_exp_f32_e32 v139, v139                                   // 00000000D4CC: 7F16418B
	v_exp_f32_e32 v140, v140                                   // 00000000D4D0: 7F18418C
	v_exp_f32_e32 v141, v141                                   // 00000000D4D4: 7F1A418D
	v_exp_f32_e32 v142, v142                                   // 00000000D4D8: 7F1C418E
	v_exp_f32_e32 v143, v143                                   // 00000000D4DC: 7F1E418F
	v_mul_f32_dpp v240, v252, v128 quad_perm:[0,0,0,0] row_mask:0xf bank_mask:0xf// 00000000D4E0: 0BE100FA FF0000FC
	v_mul_f32_dpp v241, v252, v129 quad_perm:[1,1,1,1] row_mask:0xf bank_mask:0xf// 00000000D4E8: 0BE302FA FF0055FC
	v_mul_f32_dpp v242, v252, v130 quad_perm:[2,2,2,2] row_mask:0xf bank_mask:0xf// 00000000D4F0: 0BE504FA FF00AAFC
	v_mul_f32_dpp v243, v252, v131 quad_perm:[3,3,3,3] row_mask:0xf bank_mask:0xf// 00000000D4F8: 0BE706FA FF00FFFC
	v_mul_f32_dpp v244, v253, v132 quad_perm:[0,0,0,0] row_mask:0xf bank_mask:0xf// 00000000D500: 0BE908FA FF0000FD
	v_mul_f32_dpp v245, v253, v133 quad_perm:[1,1,1,1] row_mask:0xf bank_mask:0xf// 00000000D508: 0BEB0AFA FF0055FD
	v_mul_f32_dpp v246, v253, v134 quad_perm:[2,2,2,2] row_mask:0xf bank_mask:0xf// 00000000D510: 0BED0CFA FF00AAFD
	v_mul_f32_dpp v247, v253, v135 quad_perm:[3,3,3,3] row_mask:0xf bank_mask:0xf// 00000000D518: 0BEF0EFA FF00FFFD
	v_mul_f32_dpp v248, v254, v136 quad_perm:[0,0,0,0] row_mask:0xf bank_mask:0xf// 00000000D520: 0BF110FA FF0000FE
	v_mul_f32_dpp v249, v254, v137 quad_perm:[1,1,1,1] row_mask:0xf bank_mask:0xf// 00000000D528: 0BF312FA FF0055FE
	v_mul_f32_dpp v250, v254, v138 quad_perm:[2,2,2,2] row_mask:0xf bank_mask:0xf// 00000000D530: 0BF514FA FF00AAFE
	v_mul_f32_dpp v251, v254, v139 quad_perm:[3,3,3,3] row_mask:0xf bank_mask:0xf// 00000000D538: 0BF716FA FF00FFFE
	v_mul_f32_dpp v252, v255, v140 quad_perm:[0,0,0,0] row_mask:0xf bank_mask:0xf// 00000000D540: 0BF918FA FF0000FF
	v_mul_f32_dpp v253, v255, v141 quad_perm:[1,1,1,1] row_mask:0xf bank_mask:0xf// 00000000D548: 0BFB1AFA FF0055FF
	v_mul_f32_dpp v254, v255, v142 quad_perm:[2,2,2,2] row_mask:0xf bank_mask:0xf// 00000000D550: 0BFD1CFA FF00AAFF
	v_mul_f32_dpp v255, v255, v143 quad_perm:[3,3,3,3] row_mask:0xf bank_mask:0xf// 00000000D558: 0BFF1EFA FF00FFFF
	v_mov_b32_e32 v48, 0x358637bd                              // 00000000D560: 7E6002FF 358637BD
	v_max3_f32 v48, |v240|, |v241|, v48                        // 00000000D568: D1D30330 04C3E3F0
	v_max3_f32 v48, |v242|, |v243|, v48                        // 00000000D570: D1D30330 04C3E7F2
	v_max3_f32 v48, |v244|, |v245|, v48                        // 00000000D578: D1D30330 04C3EBF4
	v_max3_f32 v48, |v246|, |v247|, v48                        // 00000000D580: D1D30330 04C3EFF6
	v_max3_f32 v48, |v248|, |v249|, v48                        // 00000000D588: D1D30330 04C3F3F8
	v_max3_f32 v48, |v250|, |v251|, v48                        // 00000000D590: D1D30330 04C3F7FA
	v_max3_f32 v48, |v252|, |v253|, v48                        // 00000000D598: D1D30330 04C3FBFC
	v_max3_f32 v48, |v254|, |v255|, v48                        // 00000000D5A0: D1D30330 04C3FFFE
	ds_write_b32 v8, v48 offset:20992                          // 00000000D5A8: D81A5200 00003008
	v_sub_f32_e32 v50, v12, v15                                // 00000000D5B0: 04641F0C
	v_cndmask_b32_e64 v50, v50, 0, s[40:41]                    // 00000000D5B4: D1000032 00A10132
	v_mov_b32_e32 v12, v15                                     // 00000000D5BC: 7E18030F
	v_mul_f32_e32 v50, s64, v50                                // 00000000D5C0: 0A646440
	v_exp_f32_e32 v50, v50                                     // 00000000D5C4: 7E644132
	s_waitcnt lgkmcnt(0)                                       // 00000000D5C8: BF8CC07F
	s_barrier                                                  // 00000000D5CC: BF8A0000
	ds_read_b32 v64, v7 offset:20992                           // 00000000D5D0: D86C5200 40000007
	ds_read_b32 v65, v7 offset:21056                           // 00000000D5D8: D86C5240 41000007
	ds_read_b32 v66, v7 offset:21120                           // 00000000D5E0: D86C5280 42000007
	ds_read_b32 v67, v7 offset:21184                           // 00000000D5E8: D86C52C0 43000007
	ds_read_b32 v68, v7 offset:21248                           // 00000000D5F0: D86C5300 44000007
	ds_read_b32 v69, v7 offset:21312                           // 00000000D5F8: D86C5340 45000007
	ds_read_b32 v70, v7 offset:21376                           // 00000000D600: D86C5380 46000007
	ds_read_b32 v71, v7 offset:21440                           // 00000000D608: D86C53C0 47000007
	ds_read_b32 v72, v7 offset:21504                           // 00000000D610: D86C5400 48000007
	ds_read_b32 v73, v7 offset:21568                           // 00000000D618: D86C5440 49000007
	ds_read_b32 v74, v7 offset:21632                           // 00000000D620: D86C5480 4A000007
	ds_read_b32 v75, v7 offset:21696                           // 00000000D628: D86C54C0 4B000007
	ds_read_b32 v76, v7 offset:21760                           // 00000000D630: D86C5500 4C000007
	ds_read_b32 v77, v7 offset:21824                           // 00000000D638: D86C5540 4D000007
	ds_read_b32 v78, v7 offset:21888                           // 00000000D640: D86C5580 4E000007
	ds_read_b32 v79, v7 offset:21952                           // 00000000D648: D86C55C0 4F000007
	v_mul_f32_e32 v39, v50, v39                                // 00000000D650: 0A4E4F32
	v_mov_b32_e32 v15, v128                                    // 00000000D654: 7E1E0380
	v_add_f32_e32 v15, v129, v15                               // 00000000D658: 021E1F81
	v_add_f32_e32 v15, v130, v15                               // 00000000D65C: 021E1F82
	v_add_f32_e32 v15, v131, v15                               // 00000000D660: 021E1F83
	v_add_f32_e32 v15, v132, v15                               // 00000000D664: 021E1F84
	v_add_f32_e32 v15, v133, v15                               // 00000000D668: 021E1F85
	v_add_f32_e32 v15, v134, v15                               // 00000000D66C: 021E1F86
	v_add_f32_e32 v15, v135, v15                               // 00000000D670: 021E1F87
	v_add_f32_e32 v15, v136, v15                               // 00000000D674: 021E1F88
	v_add_f32_e32 v15, v137, v15                               // 00000000D678: 021E1F89
	v_add_f32_e32 v15, v138, v15                               // 00000000D67C: 021E1F8A
	v_add_f32_e32 v15, v139, v15                               // 00000000D680: 021E1F8B
	v_add_f32_e32 v15, v140, v15                               // 00000000D684: 021E1F8C
	v_add_f32_e32 v15, v141, v15                               // 00000000D688: 021E1F8D
	v_add_f32_e32 v15, v142, v15                               // 00000000D68C: 021E1F8E
	v_add_f32_e32 v15, v143, v15                               // 00000000D690: 021E1F8F
	v_add_f32_e32 v39, v15, v39                                // 00000000D694: 024E4F0F
	s_waitcnt lgkmcnt(0)                                       // 00000000D698: BF8CC07F
	v_max3_f32 v48, |v64|, |v65|, v48                          // 00000000D69C: D1D30330 04C28340
	v_max3_f32 v48, |v66|, |v67|, v48                          // 00000000D6A4: D1D30330 04C28742
	v_max3_f32 v48, |v68|, |v69|, v48                          // 00000000D6AC: D1D30330 04C28B44
	v_max3_f32 v48, |v70|, |v71|, v48                          // 00000000D6B4: D1D30330 04C28F46
	v_max3_f32 v48, |v72|, |v73|, v48                          // 00000000D6BC: D1D30330 04C29348
	v_max3_f32 v48, |v74|, |v75|, v48                          // 00000000D6C4: D1D30330 04C2974A
	v_max3_f32 v48, |v76|, |v77|, v48                          // 00000000D6CC: D1D30330 04C29B4C
	v_max3_f32 v48, |v78|, |v79|, v48                          // 00000000D6D4: D1D30330 04C29F4E
	s_nop 2                                                    // 00000000D6DC: BF800002
	v_rcp_f32_e32 v48, v48                                     // 00000000D6E0: 7E604530
	s_nop 1                                                    // 00000000D6E4: BF800001
	v_mul_f32_e32 v48, 0x43e00000, v48                         // 00000000D6E8: 0A6060FF 43E00000
	v_mul_f32_e32 v128, v48, v240                              // 00000000D6F0: 0B01E130
	v_mul_f32_e32 v129, v48, v241                              // 00000000D6F4: 0B03E330
	v_mul_f32_e32 v130, v48, v242                              // 00000000D6F8: 0B05E530
	v_mul_f32_e32 v131, v48, v243                              // 00000000D6FC: 0B07E730
	v_mul_f32_e32 v132, v48, v244                              // 00000000D700: 0B09E930
	v_mul_f32_e32 v133, v48, v245                              // 00000000D704: 0B0BEB30
	v_mul_f32_e32 v134, v48, v246                              // 00000000D708: 0B0DED30
	v_mul_f32_e32 v135, v48, v247                              // 00000000D70C: 0B0FEF30
	v_mul_f32_e32 v136, v48, v248                              // 00000000D710: 0B11F130
	v_mul_f32_e32 v137, v48, v249                              // 00000000D714: 0B13F330
	v_mul_f32_e32 v138, v48, v250                              // 00000000D718: 0B15F530
	v_mul_f32_e32 v139, v48, v251                              // 00000000D71C: 0B17F730
	v_mul_f32_e32 v140, v48, v252                              // 00000000D720: 0B19F930
	v_mul_f32_e32 v141, v48, v253                              // 00000000D724: 0B1BFB30
	v_mul_f32_e32 v142, v48, v254                              // 00000000D728: 0B1DFD30
	v_mul_f32_e32 v143, v48, v255                              // 00000000D72C: 0B1FFF30
	v_cvt_pk_fp8_f32 v128, v128, v129                          // 00000000D730: D2A20080 00030380
	v_cvt_pk_fp8_f32 v128, v130, v131 op_sel:[0,0,1]           // 00000000D738: D2A24080 00030782
	v_cvt_pk_fp8_f32 v129, v132, v133                          // 00000000D740: D2A20081 00030B84
	v_cvt_pk_fp8_f32 v129, v134, v135 op_sel:[0,0,1]           // 00000000D748: D2A24081 00030F86
	v_cvt_pk_fp8_f32 v130, v136, v137                          // 00000000D750: D2A20082 00031388
	v_cvt_pk_fp8_f32 v130, v138, v139 op_sel:[0,0,1]           // 00000000D758: D2A24082 0003178A
	v_cvt_pk_fp8_f32 v131, v140, v141                          // 00000000D760: D2A20083 00031B8C
	v_cvt_pk_fp8_f32 v131, v142, v143 op_sel:[0,0,1]           // 00000000D768: D2A24083 00031F8E
	ds_write_b32 v10, v128 offset:29184                        // 00000000D770: D81A7200 0000800A
	ds_write_b32 v10, v129 offset:30208                        // 00000000D778: D81A7600 0000810A
	ds_write_b32 v10, v130 offset:31232                        // 00000000D780: D81A7A00 0000820A
	ds_write_b32 v10, v131 offset:32256                        // 00000000D788: D81A7E00 0000830A
	v_add_f32_e32 v216, v216, v184                             // 00000000D790: 03B171D8
	v_add_f32_e32 v217, v217, v185                             // 00000000D794: 03B373D9
	v_add_f32_e32 v218, v218, v186                             // 00000000D798: 03B575DA
	v_add_f32_e32 v219, v219, v187                             // 00000000D79C: 03B777DB
	v_add_f32_e32 v220, v220, v188                             // 00000000D7A0: 03B979DC
	v_add_f32_e32 v221, v221, v189                             // 00000000D7A4: 03BB7BDD
	v_add_f32_e32 v222, v222, v190                             // 00000000D7A8: 03BD7DDE
	v_add_f32_e32 v223, v223, v191                             // 00000000D7AC: 03BF7FDF
	v_rcp_f32_e32 v45, v48                                     // 00000000D7B0: 7E5A4530
	s_waitcnt lgkmcnt(0)                                       // 00000000D7B4: BF8CC07F
	s_barrier                                                  // 00000000D7B8: BF8A0000
	ds_read_b64 v[128:129], v9 offset:29184                    // 00000000D7BC: D8EC7200 80000009
	ds_read_b64 v[130:131], v9 offset:29312                    // 00000000D7C4: D8EC7280 82000009
	ds_read_b64 v[132:133], v9 offset:30208                    // 00000000D7CC: D8EC7600 84000009
	ds_read_b64 v[134:135], v9 offset:30336                    // 00000000D7D4: D8EC7680 86000009
	ds_read_b64 v[136:137], v9 offset:31232                    // 00000000D7DC: D8EC7A00 88000009
	ds_read_b64 v[138:139], v9 offset:31360                    // 00000000D7E4: D8EC7A80 8A000009
	ds_read_b64 v[140:141], v9 offset:32256                    // 00000000D7EC: D8EC7E00 8C000009
	ds_read_b64 v[142:143], v9 offset:32384                    // 00000000D7F4: D8EC7E80 8E000009
	s_waitcnt vmcnt(0)                                         // 00000000D7FC: BF8C0F70
	s_barrier                                                  // 00000000D800: BF8A0000
	v_mfma_f32_16x16x32_fp8_fp8 v[176:179], a[96:97], v[112:113], 0// 00000000D804: D3F300B0 0A02E160
	v_mfma_f32_16x16x32_fp8_fp8 v[176:179], a[98:99], v[114:115], v[176:179]// 00000000D80C: D3F300B0 0EC2E562
	v_mfma_f32_16x16x32_fp8_fp8 v[176:179], a[100:101], v[116:117], v[176:179]// 00000000D814: D3F300B0 0EC2E964
	v_mfma_f32_16x16x32_fp8_fp8 v[176:179], a[102:103], v[118:119], v[176:179]// 00000000D81C: D3F300B0 0EC2ED66
	v_mfma_f32_16x16x32_fp8_fp8 v[176:179], a[104:105], v[120:121], v[176:179]// 00000000D824: D3F300B0 0EC2F168
	v_mfma_f32_16x16x32_fp8_fp8 v[176:179], a[106:107], v[122:123], v[176:179]// 00000000D82C: D3F300B0 0EC2F56A
	v_mfma_f32_16x16x32_fp8_fp8 v[176:179], a[108:109], v[124:125], v[176:179]// 00000000D834: D3F300B0 0EC2F96C
	v_mfma_f32_16x16x32_fp8_fp8 v[176:179], a[110:111], v[126:127], v[176:179]// 00000000D83C: D3F300B0 0EC2FD6E
	v_mfma_f32_16x16x32_fp8_fp8 v[180:183], a[112:113], v[112:113], 0// 00000000D844: D3F300B4 0A02E170
	v_mfma_f32_16x16x32_fp8_fp8 v[180:183], a[114:115], v[114:115], v[180:183]// 00000000D84C: D3F300B4 0ED2E572
	v_mfma_f32_16x16x32_fp8_fp8 v[180:183], a[116:117], v[116:117], v[180:183]// 00000000D854: D3F300B4 0ED2E974
	v_mfma_f32_16x16x32_fp8_fp8 v[180:183], a[118:119], v[118:119], v[180:183]// 00000000D85C: D3F300B4 0ED2ED76
	v_mfma_f32_16x16x32_fp8_fp8 v[180:183], a[120:121], v[120:121], v[180:183]// 00000000D864: D3F300B4 0ED2F178
	v_mfma_f32_16x16x32_fp8_fp8 v[180:183], a[122:123], v[122:123], v[180:183]// 00000000D86C: D3F300B4 0ED2F57A
	v_mfma_f32_16x16x32_fp8_fp8 v[180:183], a[124:125], v[124:125], v[180:183]// 00000000D874: D3F300B4 0ED2F97C
	v_mfma_f32_16x16x32_fp8_fp8 v[180:183], a[126:127], v[126:127], v[180:183]// 00000000D87C: D3F300B4 0ED2FD7E
	v_mfma_f32_16x16x32_fp8_fp8 v[184:187], a[96:97], v[128:129], 0// 00000000D884: D3F300B8 0A030160
	v_mfma_f32_16x16x32_fp8_fp8 v[184:187], a[98:99], v[130:131], v[184:187]// 00000000D88C: D3F300B8 0EE30562
	v_mfma_f32_16x16x32_fp8_fp8 v[184:187], a[100:101], v[132:133], v[184:187]// 00000000D894: D3F300B8 0EE30964
	v_mfma_f32_16x16x32_fp8_fp8 v[184:187], a[102:103], v[134:135], v[184:187]// 00000000D89C: D3F300B8 0EE30D66
	v_mfma_f32_16x16x32_fp8_fp8 v[184:187], a[104:105], v[136:137], v[184:187]// 00000000D8A4: D3F300B8 0EE31168
	v_mfma_f32_16x16x32_fp8_fp8 v[184:187], a[106:107], v[138:139], v[184:187]// 00000000D8AC: D3F300B8 0EE3156A
	v_mfma_f32_16x16x32_fp8_fp8 v[184:187], a[108:109], v[140:141], v[184:187]// 00000000D8B4: D3F300B8 0EE3196C
	v_mfma_f32_16x16x32_fp8_fp8 v[184:187], a[110:111], v[142:143], v[184:187]// 00000000D8BC: D3F300B8 0EE31D6E
	v_mfma_f32_16x16x32_fp8_fp8 v[188:191], a[112:113], v[128:129], 0// 00000000D8C4: D3F300BC 0A030170
	v_mfma_f32_16x16x32_fp8_fp8 v[188:191], a[114:115], v[130:131], v[188:191]// 00000000D8CC: D3F300BC 0EF30572
	v_mfma_f32_16x16x32_fp8_fp8 v[188:191], a[116:117], v[132:133], v[188:191]// 00000000D8D4: D3F300BC 0EF30974
	v_mfma_f32_16x16x32_fp8_fp8 v[188:191], a[118:119], v[134:135], v[188:191]// 00000000D8DC: D3F300BC 0EF30D76
	v_mfma_f32_16x16x32_fp8_fp8 v[188:191], a[120:121], v[136:137], v[188:191]// 00000000D8E4: D3F300BC 0EF31178
	v_mfma_f32_16x16x32_fp8_fp8 v[188:191], a[122:123], v[138:139], v[188:191]// 00000000D8EC: D3F300BC 0EF3157A
	v_mfma_f32_16x16x32_fp8_fp8 v[188:191], a[124:125], v[140:141], v[188:191]// 00000000D8F4: D3F300BC 0EF3197C
	v_mfma_f32_16x16x32_fp8_fp8 v[188:191], a[126:127], v[142:143], v[188:191]// 00000000D8FC: D3F300BC 0EF31D7E
	s_nop 4                                                    // 00000000D904: BF800004
	s_branch label_2DC3                                        // 00000000D908: BF820000

000000000000d90c <label_2DC3>:
	v_mul_f32_e32 v208, v49, v208                              // 00000000D90C: 0BA1A131
	v_mul_f32_e32 v209, v49, v209                              // 00000000D910: 0BA3A331
	v_mul_f32_e32 v210, v49, v210                              // 00000000D914: 0BA5A531
	v_mul_f32_e32 v211, v49, v211                              // 00000000D918: 0BA7A731
	v_mul_f32_e32 v212, v49, v212                              // 00000000D91C: 0BA9A931
	v_mul_f32_e32 v213, v49, v213                              // 00000000D920: 0BABAB31
	v_mul_f32_e32 v214, v49, v214                              // 00000000D924: 0BADAD31
	v_mul_f32_e32 v215, v49, v215                              // 00000000D928: 0BAFAF31
	v_mul_f32_e32 v176, v44, v176                              // 00000000D92C: 0B61612C
	v_mul_f32_e32 v177, v44, v177                              // 00000000D930: 0B63632C
	v_mul_f32_e32 v178, v44, v178                              // 00000000D934: 0B65652C
	v_mul_f32_e32 v179, v44, v179                              // 00000000D938: 0B67672C
	v_mul_f32_e32 v180, v44, v180                              // 00000000D93C: 0B69692C
	v_mul_f32_e32 v181, v44, v181                              // 00000000D940: 0B6B6B2C
	v_mul_f32_e32 v182, v44, v182                              // 00000000D944: 0B6D6D2C
	v_mul_f32_e32 v183, v44, v183                              // 00000000D948: 0B6F6F2C
	v_add_f32_e32 v208, v208, v176                             // 00000000D94C: 03A161D0
	v_add_f32_e32 v209, v209, v177                             // 00000000D950: 03A363D1
	v_add_f32_e32 v210, v210, v178                             // 00000000D954: 03A565D2
	v_add_f32_e32 v211, v211, v179                             // 00000000D958: 03A767D3
	v_add_f32_e32 v212, v212, v180                             // 00000000D95C: 03A969D4
	v_add_f32_e32 v213, v213, v181                             // 00000000D960: 03AB6BD5
	v_add_f32_e32 v214, v214, v182                             // 00000000D964: 03AD6DD6
	v_add_f32_e32 v215, v215, v183                             // 00000000D968: 03AF6FD7
	ds_write_b32 v8, v38 offset:16896                          // 00000000D96C: D81A4200 00002608
	s_waitcnt lgkmcnt(0)                                       // 00000000D974: BF8CC07F
	s_barrier                                                  // 00000000D978: BF8A0000
	ds_read_b32 v64, v7 offset:16896                           // 00000000D97C: D86C4200 40000007
	ds_read_b32 v65, v7 offset:16960                           // 00000000D984: D86C4240 41000007
	ds_read_b32 v66, v7 offset:17024                           // 00000000D98C: D86C4280 42000007
	ds_read_b32 v67, v7 offset:17088                           // 00000000D994: D86C42C0 43000007
	ds_read_b32 v68, v7 offset:17152                           // 00000000D99C: D86C4300 44000007
	ds_read_b32 v69, v7 offset:17216                           // 00000000D9A4: D86C4340 45000007
	ds_read_b32 v70, v7 offset:17280                           // 00000000D9AC: D86C4380 46000007
	ds_read_b32 v71, v7 offset:17344                           // 00000000D9B4: D86C43C0 47000007
	ds_read_b32 v72, v7 offset:17408                           // 00000000D9BC: D86C4400 48000007
	ds_read_b32 v73, v7 offset:17472                           // 00000000D9C4: D86C4440 49000007
	ds_read_b32 v74, v7 offset:17536                           // 00000000D9CC: D86C4480 4A000007
	ds_read_b32 v75, v7 offset:17600                           // 00000000D9D4: D86C44C0 4B000007
	ds_read_b32 v76, v7 offset:17664                           // 00000000D9DC: D86C4500 4C000007
	ds_read_b32 v77, v7 offset:17728                           // 00000000D9E4: D86C4540 4D000007
	ds_read_b32 v78, v7 offset:17792                           // 00000000D9EC: D86C4580 4E000007
	ds_read_b32 v79, v7 offset:17856                           // 00000000D9F4: D86C45C0 4F000007
	s_waitcnt lgkmcnt(0)                                       // 00000000D9FC: BF8CC07F
	v_mov_b32_e32 v38, 0                                       // 00000000DA00: 7E4C0280
	v_add_f32_e32 v38, v64, v38                                // 00000000DA04: 024C4D40
	v_add_f32_e32 v38, v65, v38                                // 00000000DA08: 024C4D41
	v_add_f32_e32 v38, v66, v38                                // 00000000DA0C: 024C4D42
	v_add_f32_e32 v38, v67, v38                                // 00000000DA10: 024C4D43
	v_add_f32_e32 v38, v68, v38                                // 00000000DA14: 024C4D44
	v_add_f32_e32 v38, v69, v38                                // 00000000DA18: 024C4D45
	v_add_f32_e32 v38, v70, v38                                // 00000000DA1C: 024C4D46
	v_add_f32_e32 v38, v71, v38                                // 00000000DA20: 024C4D47
	v_add_f32_e32 v38, v72, v38                                // 00000000DA24: 024C4D48
	v_add_f32_e32 v38, v73, v38                                // 00000000DA28: 024C4D49
	v_add_f32_e32 v38, v74, v38                                // 00000000DA2C: 024C4D4A
	v_add_f32_e32 v38, v75, v38                                // 00000000DA30: 024C4D4B
	v_add_f32_e32 v38, v76, v38                                // 00000000DA34: 024C4D4C
	v_add_f32_e32 v38, v77, v38                                // 00000000DA38: 024C4D4D
	v_add_f32_e32 v38, v78, v38                                // 00000000DA3C: 024C4D4E
	v_add_f32_e32 v38, v79, v38                                // 00000000DA40: 024C4D4F
	s_nop 1                                                    // 00000000DA44: BF800001
	v_rcp_f32_e32 v38, v38                                     // 00000000DA48: 7E4C4526
	s_nop 1                                                    // 00000000DA4C: BF800001
	v_mul_f32_e32 v208, v38, v208                              // 00000000DA50: 0BA1A126
	v_mul_f32_e32 v209, v38, v209                              // 00000000DA54: 0BA3A326
	v_mul_f32_e32 v210, v38, v210                              // 00000000DA58: 0BA5A526
	v_mul_f32_e32 v211, v38, v211                              // 00000000DA5C: 0BA7A726
	v_mul_f32_e32 v212, v38, v212                              // 00000000DA60: 0BA9A926
	v_mul_f32_e32 v213, v38, v213                              // 00000000DA64: 0BABAB26
	v_mul_f32_e32 v214, v38, v214                              // 00000000DA68: 0BADAD26
	v_mul_f32_e32 v215, v38, v215                              // 00000000DA6C: 0BAFAF26
	v_mov_b32_e32 v19, 0xffff0000                              // 00000000DA70: 7E2602FF FFFF0000
	v_mov_b32_e32 v20, 0x7fff0000                              // 00000000DA78: 7E2802FF 7FFF0000
	v_mov_b32_e32 v21, 0x7fff                                  // 00000000DA80: 7E2A02FF 00007FFF
	v_cvt_pkrtz_f16_f32 v64, v208, v209                        // 00000000DA88: D2960040 0003A3D0
	v_mov_b32_e32 v208, v64                                    // 00000000DA90: 7FA00340
	v_cvt_pkrtz_f16_f32 v64, v210, v211                        // 00000000DA94: D2960040 0003A7D2
	v_mov_b32_e32 v209, v64                                    // 00000000DA9C: 7FA20340
	v_cvt_pkrtz_f16_f32 v64, v212, v213                        // 00000000DAA0: D2960040 0003ABD4
	v_mov_b32_e32 v210, v64                                    // 00000000DAA8: 7FA40340
	v_cvt_pkrtz_f16_f32 v64, v214, v215                        // 00000000DAAC: D2960040 0003AFD6
	v_mov_b32_e32 v211, v64                                    // 00000000DAB4: 7FA60340
	s_nop 1                                                    // 00000000DAB8: BF800001
	v_lshrrev_b32_e32 v64, 4, v0                               // 00000000DABC: 20800084
	v_mul_i32_i24_e32 v68, 34, v64                             // 00000000DAC0: 0C8880A2
	v_and_b32_e32 v64, 15, v0                                  // 00000000DAC4: 2680008F
	v_mul_i32_i24_e32 v65, 2, v64                              // 00000000DAC8: 0C828082
	v_add_u32_e32 v68, v65, v68                                // 00000000DACC: 68888941
	s_mul_i32 s60, s7, 0x88                                    // 00000000DAD0: 923CFF07 00000088
	v_add_u32_e32 v68, s60, v68                                // 00000000DAD8: 6888883C
	v_lshlrev_b32_e32 v68, 2, v68                              // 00000000DADC: 24888882
	ds_write_b64 v68, v[208:209] offset:41472                  // 00000000DAE0: D89AA200 0000D044
	ds_write_b64 v68, v[210:211] offset:43648                  // 00000000DAE8: D89AAA80 0000D244
	v_lshrrev_b32_e32 v64, 1, v0                               // 00000000DAF0: 20800081
	v_mul_i32_i24_e32 v68, 34, v64                             // 00000000DAF4: 0C8880A2
	v_and_b32_e32 v65, 1, v0                                   // 00000000DAF8: 26820081
	v_add_u32_e32 v68, v65, v68                                // 00000000DAFC: 68888941
	s_mul_i32 s60, s7, 2                                       // 00000000DB00: 923C8207
	v_add_u32_e32 v68, s60, v68                                // 00000000DB04: 6888883C
	v_lshlrev_b32_e32 v68, 2, v68                              // 00000000DB08: 24888882
	s_waitcnt lgkmcnt(0)                                       // 00000000DB0C: BF8CC07F
	s_barrier                                                  // 00000000DB10: BF8A0000
	ds_read_b32 v208, v68 offset:41472                         // 00000000DB14: D86CA200 D0000044
	ds_read_b32 v209, v68 offset:41504                         // 00000000DB1C: D86CA220 D1000044
	ds_read_b32 v210, v68 offset:41536                         // 00000000DB24: D86CA240 D2000044
	ds_read_b32 v211, v68 offset:41568                         // 00000000DB2C: D86CA260 D3000044
	s_mul_i32 s60, s7, 0x100                                   // 00000000DB34: 923CFF07 00000100
	v_lshlrev_b32_e32 v64, 2, v0                               // 00000000DB3C: 24800082
	v_add_u32_e64 v64, v64, s60                                // 00000000DB40: D1340040 00007940
	s_waitcnt lgkmcnt(0)                                       // 00000000DB48: BF8CC07F
	buffer_store_dword v208, v64, s[8:11], 0 offen             // 00000000DB4C: E0701000 8002D040
	buffer_store_dword v209, v64, s[8:11], 0 offen offset:1024 // 00000000DB54: E0701400 8002D140
	buffer_store_dword v210, v64, s[8:11], 0 offen offset:2048 // 00000000DB5C: E0701800 8002D240
	buffer_store_dword v211, v64, s[8:11], 0 offen offset:3072 // 00000000DB64: E0701C00 8002D340
	s_add_u32 s8, s75, s8                                      // 00000000DB6C: 8008084B
	s_addc_u32 s9, 0, s9                                       // 00000000DB70: 82090980
	v_mul_f32_e32 v216, v50, v216                              // 00000000DB74: 0BB1B132
	v_mul_f32_e32 v217, v50, v217                              // 00000000DB78: 0BB3B332
	v_mul_f32_e32 v218, v50, v218                              // 00000000DB7C: 0BB5B532
	v_mul_f32_e32 v219, v50, v219                              // 00000000DB80: 0BB7B732
	v_mul_f32_e32 v220, v50, v220                              // 00000000DB84: 0BB9B932
	v_mul_f32_e32 v221, v50, v221                              // 00000000DB88: 0BBBBB32
	v_mul_f32_e32 v222, v50, v222                              // 00000000DB8C: 0BBDBD32
	v_mul_f32_e32 v223, v50, v223                              // 00000000DB90: 0BBFBF32
	v_mul_f32_e32 v184, v45, v184                              // 00000000DB94: 0B71712D
	v_mul_f32_e32 v185, v45, v185                              // 00000000DB98: 0B73732D
	v_mul_f32_e32 v186, v45, v186                              // 00000000DB9C: 0B75752D
	v_mul_f32_e32 v187, v45, v187                              // 00000000DBA0: 0B77772D
	v_mul_f32_e32 v188, v45, v188                              // 00000000DBA4: 0B79792D
	v_mul_f32_e32 v189, v45, v189                              // 00000000DBA8: 0B7B7B2D
	v_mul_f32_e32 v190, v45, v190                              // 00000000DBAC: 0B7D7D2D
	v_mul_f32_e32 v191, v45, v191                              // 00000000DBB0: 0B7F7F2D
	v_add_f32_e32 v216, v216, v184                             // 00000000DBB4: 03B171D8
	v_add_f32_e32 v217, v217, v185                             // 00000000DBB8: 03B373D9
	v_add_f32_e32 v218, v218, v186                             // 00000000DBBC: 03B575DA
	v_add_f32_e32 v219, v219, v187                             // 00000000DBC0: 03B777DB
	v_add_f32_e32 v220, v220, v188                             // 00000000DBC4: 03B979DC
	v_add_f32_e32 v221, v221, v189                             // 00000000DBC8: 03BB7BDD
	v_add_f32_e32 v222, v222, v190                             // 00000000DBCC: 03BD7DDE
	v_add_f32_e32 v223, v223, v191                             // 00000000DBD0: 03BF7FDF
	ds_write_b32 v8, v39 offset:16896                          // 00000000DBD4: D81A4200 00002708
	s_waitcnt lgkmcnt(0)                                       // 00000000DBDC: BF8CC07F
	s_barrier                                                  // 00000000DBE0: BF8A0000
	ds_read_b32 v64, v7 offset:16896                           // 00000000DBE4: D86C4200 40000007
	ds_read_b32 v65, v7 offset:16960                           // 00000000DBEC: D86C4240 41000007
	ds_read_b32 v66, v7 offset:17024                           // 00000000DBF4: D86C4280 42000007
	ds_read_b32 v67, v7 offset:17088                           // 00000000DBFC: D86C42C0 43000007
	ds_read_b32 v68, v7 offset:17152                           // 00000000DC04: D86C4300 44000007
	ds_read_b32 v69, v7 offset:17216                           // 00000000DC0C: D86C4340 45000007
	ds_read_b32 v70, v7 offset:17280                           // 00000000DC14: D86C4380 46000007
	ds_read_b32 v71, v7 offset:17344                           // 00000000DC1C: D86C43C0 47000007
	ds_read_b32 v72, v7 offset:17408                           // 00000000DC24: D86C4400 48000007
	ds_read_b32 v73, v7 offset:17472                           // 00000000DC2C: D86C4440 49000007
	ds_read_b32 v74, v7 offset:17536                           // 00000000DC34: D86C4480 4A000007
	ds_read_b32 v75, v7 offset:17600                           // 00000000DC3C: D86C44C0 4B000007
	ds_read_b32 v76, v7 offset:17664                           // 00000000DC44: D86C4500 4C000007
	ds_read_b32 v77, v7 offset:17728                           // 00000000DC4C: D86C4540 4D000007
	ds_read_b32 v78, v7 offset:17792                           // 00000000DC54: D86C4580 4E000007
	ds_read_b32 v79, v7 offset:17856                           // 00000000DC5C: D86C45C0 4F000007
	s_waitcnt lgkmcnt(0)                                       // 00000000DC64: BF8CC07F
	v_mov_b32_e32 v39, 0                                       // 00000000DC68: 7E4E0280
	v_add_f32_e32 v39, v64, v39                                // 00000000DC6C: 024E4F40
	v_add_f32_e32 v39, v65, v39                                // 00000000DC70: 024E4F41
	v_add_f32_e32 v39, v66, v39                                // 00000000DC74: 024E4F42
	v_add_f32_e32 v39, v67, v39                                // 00000000DC78: 024E4F43
	v_add_f32_e32 v39, v68, v39                                // 00000000DC7C: 024E4F44
	v_add_f32_e32 v39, v69, v39                                // 00000000DC80: 024E4F45
	v_add_f32_e32 v39, v70, v39                                // 00000000DC84: 024E4F46
	v_add_f32_e32 v39, v71, v39                                // 00000000DC88: 024E4F47
	v_add_f32_e32 v39, v72, v39                                // 00000000DC8C: 024E4F48
	v_add_f32_e32 v39, v73, v39                                // 00000000DC90: 024E4F49
	v_add_f32_e32 v39, v74, v39                                // 00000000DC94: 024E4F4A
	v_add_f32_e32 v39, v75, v39                                // 00000000DC98: 024E4F4B
	v_add_f32_e32 v39, v76, v39                                // 00000000DC9C: 024E4F4C
	v_add_f32_e32 v39, v77, v39                                // 00000000DCA0: 024E4F4D
	v_add_f32_e32 v39, v78, v39                                // 00000000DCA4: 024E4F4E
	v_add_f32_e32 v39, v79, v39                                // 00000000DCA8: 024E4F4F
	s_nop 1                                                    // 00000000DCAC: BF800001
	v_rcp_f32_e32 v39, v39                                     // 00000000DCB0: 7E4E4527
	s_nop 1                                                    // 00000000DCB4: BF800001
	v_mul_f32_e32 v216, v39, v216                              // 00000000DCB8: 0BB1B127
	v_mul_f32_e32 v217, v39, v217                              // 00000000DCBC: 0BB3B327
	v_mul_f32_e32 v218, v39, v218                              // 00000000DCC0: 0BB5B527
	v_mul_f32_e32 v219, v39, v219                              // 00000000DCC4: 0BB7B727
	v_mul_f32_e32 v220, v39, v220                              // 00000000DCC8: 0BB9B927
	v_mul_f32_e32 v221, v39, v221                              // 00000000DCCC: 0BBBBB27
	v_mul_f32_e32 v222, v39, v222                              // 00000000DCD0: 0BBDBD27
	v_mul_f32_e32 v223, v39, v223                              // 00000000DCD4: 0BBFBF27
	v_mov_b32_e32 v19, 0xffff0000                              // 00000000DCD8: 7E2602FF FFFF0000
	v_mov_b32_e32 v20, 0x7fff0000                              // 00000000DCE0: 7E2802FF 7FFF0000
	v_mov_b32_e32 v21, 0x7fff                                  // 00000000DCE8: 7E2A02FF 00007FFF
	v_cvt_pkrtz_f16_f32 v64, v216, v217                        // 00000000DCF0: D2960040 0003B3D8
	v_mov_b32_e32 v216, v64                                    // 00000000DCF8: 7FB00340
	v_cvt_pkrtz_f16_f32 v64, v218, v219                        // 00000000DCFC: D2960040 0003B7DA
	v_mov_b32_e32 v217, v64                                    // 00000000DD04: 7FB20340
	v_cvt_pkrtz_f16_f32 v64, v220, v221                        // 00000000DD08: D2960040 0003BBDC
	v_mov_b32_e32 v218, v64                                    // 00000000DD10: 7FB40340
	v_cvt_pkrtz_f16_f32 v64, v222, v223                        // 00000000DD14: D2960040 0003BFDE
	v_mov_b32_e32 v219, v64                                    // 00000000DD1C: 7FB60340
	s_nop 1                                                    // 00000000DD20: BF800001
	v_lshrrev_b32_e32 v64, 4, v0                               // 00000000DD24: 20800084
	v_mul_i32_i24_e32 v68, 34, v64                             // 00000000DD28: 0C8880A2
	v_and_b32_e32 v64, 15, v0                                  // 00000000DD2C: 2680008F
	v_mul_i32_i24_e32 v65, 2, v64                              // 00000000DD30: 0C828082
	v_add_u32_e32 v68, v65, v68                                // 00000000DD34: 68888941
	s_mul_i32 s60, s7, 0x88                                    // 00000000DD38: 923CFF07 00000088
	v_add_u32_e32 v68, s60, v68                                // 00000000DD40: 6888883C
	v_lshlrev_b32_e32 v68, 2, v68                              // 00000000DD44: 24888882
	ds_write_b64 v68, v[216:217] offset:41472                  // 00000000DD48: D89AA200 0000D844
	ds_write_b64 v68, v[218:219] offset:43648                  // 00000000DD50: D89AAA80 0000DA44
	v_lshrrev_b32_e32 v64, 1, v0                               // 00000000DD58: 20800081
	v_mul_i32_i24_e32 v68, 34, v64                             // 00000000DD5C: 0C8880A2
	v_and_b32_e32 v65, 1, v0                                   // 00000000DD60: 26820081
	v_add_u32_e32 v68, v65, v68                                // 00000000DD64: 68888941
	s_mul_i32 s60, s7, 2                                       // 00000000DD68: 923C8207
	v_add_u32_e32 v68, s60, v68                                // 00000000DD6C: 6888883C
	v_lshlrev_b32_e32 v68, 2, v68                              // 00000000DD70: 24888882
	s_waitcnt lgkmcnt(0)                                       // 00000000DD74: BF8CC07F
	s_barrier                                                  // 00000000DD78: BF8A0000
	ds_read_b32 v216, v68 offset:41472                         // 00000000DD7C: D86CA200 D8000044
	ds_read_b32 v217, v68 offset:41504                         // 00000000DD84: D86CA220 D9000044
	ds_read_b32 v218, v68 offset:41536                         // 00000000DD8C: D86CA240 DA000044
	ds_read_b32 v219, v68 offset:41568                         // 00000000DD94: D86CA260 DB000044
	s_mul_i32 s60, s7, 0x100                                   // 00000000DD9C: 923CFF07 00000100
	v_lshlrev_b32_e32 v64, 2, v0                               // 00000000DDA4: 24800082
	v_add_u32_e64 v64, v64, s60                                // 00000000DDA8: D1340040 00007940
	s_waitcnt lgkmcnt(0)                                       // 00000000DDB0: BF8CC07F
	buffer_store_dword v216, v64, s[8:11], 0 offen             // 00000000DDB4: E0701000 8002D840
	buffer_store_dword v217, v64, s[8:11], 0 offen offset:1024 // 00000000DDBC: E0701400 8002D940
	buffer_store_dword v218, v64, s[8:11], 0 offen offset:2048 // 00000000DDC4: E0701800 8002DA40
	buffer_store_dword v219, v64, s[8:11], 0 offen offset:3072 // 00000000DDCC: E0701C00 8002DB40
	s_add_u32 s8, s75, s8                                      // 00000000DDD4: 8008084B
	s_addc_u32 s9, 0, s9                                       // 00000000DDD8: 82090980

000000000000dddc <label_2EF7>:
	s_branch label_5AF0                                        // 00000000DDDC: BF822BF8

000000000000dde0 <label_2EF8>:
	s_mul_i32 s60, s3, s65                                     // 00000000DDE0: 923C4103
	s_mul_i32 s60, s60, 4                                      // 00000000DDE4: 923C843C
	s_add_u32 s24, s60, s24                                    // 00000000DDE8: 8018183C
	s_addc_u32 s25, 0, s25                                     // 00000000DDEC: 82191980
	s_mov_b32 s56, 64                                          // 00000000DDF0: BEB800C0
	s_add_u32 s73, s72, 15                                     // 00000000DDF4: 80498F48
	s_lshr_b32 s73, s73, 4                                     // 00000000DDF8: 8F498449
	s_mul_i32 s60, s73, 4                                      // 00000000DDFC: 923C8449
	s_mov_b32 s26, s60                                         // 00000000DE00: BE9A003C
	v_and_b32_e32 v65, 3, v0                                   // 00000000DE04: 26820083
	v_cmp_eq_u32_e64 s[60:61], 0, v65                          // 00000000DE08: D0CA003C 00028280
	v_and_b32_e32 v64, 12, v0                                  // 00000000DE10: 2680008C
	v_add_u32_e32 v1, s7, v64                                  // 00000000DE14: 68028007
	v_cndmask_b32_e64 v1, 0, v1, s[60:61]                      // 00000000DE18: D1000001 00F20280
	v_and_b32_e32 v65, 3, v0                                   // 00000000DE20: 26820083
	v_cmp_eq_u32_e64 s[60:61], 1, v65                          // 00000000DE24: D0CA003C 00028281
	v_lshrrev_b32_e32 v64, 4, v0                               // 00000000DE2C: 20800084
	v_and_b32_e32 v65, 12, v0                                  // 00000000DE30: 2682008C
	v_add_u32_e32 v64, v65, v64                                // 00000000DE34: 68808141
	v_cndmask_b32_e64 v64, 0, v64, s[60:61]                    // 00000000DE38: D1000040 00F28080
	v_add_u32_e32 v1, v1, v64                                  // 00000000DE40: 68028101
	v_lshlrev_b32_e32 v1, 2, v1                                // 00000000DE44: 24020282
	buffer_load_dword v16, v1, s[24:27], 0 offen               // 00000000DE48: E0501000 80061001
	v_add_u32_e32 v1, s56, v1                                  // 00000000DE50: 68020238
	buffer_load_dword v17, v1, s[24:27], 0 offen               // 00000000DE54: E0501000 80061101
	s_cmp_le_u32 s73, 32                                       // 00000000DE5C: BF0BA049
	s_cselect_b32 s56, 0, s56                                  // 00000000DE60: 85383880
	s_mul_i32 s60, s2, s67                                     // 00000000DE64: 923C4302
	s_mul_i32 s61, s84, s74                                    // 00000000DE68: 923D4A54
	s_add_u32 s60, s60, s61                                    // 00000000DE6C: 803C3D3C
	s_add_u32 s12, s60, s12                                    // 00000000DE70: 800C0C3C
	s_addc_u32 s13, 0, s13                                     // 00000000DE74: 820D0D80
	s_mul_i32 s60, s7, 0x108                                   // 00000000DE78: 923CFF07 00000108
	s_add_u32 m0, 0, s60                                       // 00000000DE80: 807C3C80
	s_mul_i32 s60, s7, 0x100                                   // 00000000DE84: 923CFF07 00000100
	v_lshlrev_b32_e32 v64, 2, v0                               // 00000000DE8C: 24800082
	v_add_u32_e64 v64, v64, s60                                // 00000000DE90: D1340040 00007940
	v_add_u32_e32 v65, 0x400, v64                              // 00000000DE98: 688280FF 00000400
	v_add_u32_e32 v66, 0x800, v64                              // 00000000DEA0: 688480FF 00000800
	v_add_u32_e32 v67, 0xc00, v64                              // 00000000DEA8: 688680FF 00000C00
	buffer_load_dword v64, s[12:15], 0 offen lds               // 00000000DEB0: E0511000 80030040
	s_mul_i32 s60, 4, 0x108                                    // 00000000DEB8: 923CFF84 00000108
	s_add_u32 m0, m0, s60                                      // 00000000DEC0: 807C3C7C
	buffer_load_dword v65, s[12:15], 0 offen lds               // 00000000DEC4: E0511000 80030041
	s_mul_i32 s60, 4, 0x108                                    // 00000000DECC: 923CFF84 00000108
	s_add_u32 m0, m0, s60                                      // 00000000DED4: 807C3C7C
	buffer_load_dword v66, s[12:15], 0 offen lds               // 00000000DED8: E0511000 80030042
	s_mul_i32 s60, 4, 0x108                                    // 00000000DEE0: 923CFF84 00000108
	s_add_u32 m0, m0, s60                                      // 00000000DEE8: 807C3C7C
	buffer_load_dword v67, s[12:15], 0 offen lds               // 00000000DEEC: E0511000 80030043
	s_mul_i32 s60, 4, 0x108                                    // 00000000DEF4: 923CFF84 00000108
	s_add_u32 m0, m0, s60                                      // 00000000DEFC: 807C3C7C
	s_add_u32 s12, s74, s12                                    // 00000000DF00: 800C0C4A
	s_addc_u32 s13, 0, s13                                     // 00000000DF04: 820D0D80
	buffer_load_dword v64, s[12:15], 0 offen lds               // 00000000DF08: E0511000 80030040
	s_mul_i32 s60, 4, 0x108                                    // 00000000DF10: 923CFF84 00000108
	s_add_u32 m0, m0, s60                                      // 00000000DF18: 807C3C7C
	buffer_load_dword v65, s[12:15], 0 offen lds               // 00000000DF1C: E0511000 80030041
	s_mul_i32 s60, 4, 0x108                                    // 00000000DF24: 923CFF84 00000108
	s_add_u32 m0, m0, s60                                      // 00000000DF2C: 807C3C7C
	buffer_load_dword v66, s[12:15], 0 offen lds               // 00000000DF30: E0511000 80030042
	s_mul_i32 s60, 4, 0x108                                    // 00000000DF38: 923CFF84 00000108
	s_add_u32 m0, m0, s60                                      // 00000000DF40: 807C3C7C
	buffer_load_dword v67, s[12:15], 0 offen lds               // 00000000DF44: E0511000 80030043
	s_mul_i32 s60, 4, 0x108                                    // 00000000DF4C: 923CFF84 00000108
	s_add_u32 m0, m0, s60                                      // 00000000DF54: 807C3C7C
	s_add_u32 s12, s74, s12                                    // 00000000DF58: 800C0C4A
	s_addc_u32 s13, 0, s13                                     // 00000000DF5C: 820D0D80
	buffer_load_dword v64, s[12:15], 0 offen lds               // 00000000DF60: E0511000 80030040
	s_mul_i32 s60, 4, 0x108                                    // 00000000DF68: 923CFF84 00000108
	s_add_u32 m0, m0, s60                                      // 00000000DF70: 807C3C7C
	buffer_load_dword v65, s[12:15], 0 offen lds               // 00000000DF74: E0511000 80030041
	s_mul_i32 s60, 4, 0x108                                    // 00000000DF7C: 923CFF84 00000108
	s_add_u32 m0, m0, s60                                      // 00000000DF84: 807C3C7C
	buffer_load_dword v66, s[12:15], 0 offen lds               // 00000000DF88: E0511000 80030042
	s_mul_i32 s60, 4, 0x108                                    // 00000000DF90: 923CFF84 00000108
	s_add_u32 m0, m0, s60                                      // 00000000DF98: 807C3C7C
	buffer_load_dword v67, s[12:15], 0 offen lds               // 00000000DF9C: E0511000 80030043
	s_mul_i32 s60, 4, 0x108                                    // 00000000DFA4: 923CFF84 00000108
	s_add_u32 m0, m0, s60                                      // 00000000DFAC: 807C3C7C
	s_add_u32 s12, s74, s12                                    // 00000000DFB0: 800C0C4A
	s_addc_u32 s13, 0, s13                                     // 00000000DFB4: 820D0D80
	v_lshrrev_b32_e32 v64, 4, v0                               // 00000000DFB8: 20800084
	v_lshlrev_b32_e32 v64, 2, v64                              // 00000000DFBC: 24808082
	v_and_b32_e32 v65, 3, v0                                   // 00000000DFC0: 26820083
	v_add_u32_e32 v64, v65, v64                                // 00000000DFC4: 68808141
	v_lshlrev_b32_e32 v59, 2, v64                              // 00000000DFC8: 24768082
	v_mov_b32_e32 v60, v59                                     // 00000000DFCC: 7E78033B
	s_mul_i32 s60, s2, 64                                      // 00000000DFD0: 923CC002
	s_add_u32 s32, s60, s32                                    // 00000000DFD4: 8020203C
	s_addc_u32 s33, 0, s33                                     // 00000000DFD8: 82212180
	s_add_u32 s36, s60, s36                                    // 00000000DFDC: 8024243C
	s_addc_u32 s37, 0, s37                                     // 00000000DFE0: 82252580
	s_mul_i32 s60, s2, s76                                     // 00000000DFE4: 923C4C02
	s_mul_i32 s61, s84, s75                                    // 00000000DFE8: 923D4B54
	s_add_u32 s60, s60, s61                                    // 00000000DFEC: 803C3D3C
	s_add_u32 s8, s60, s8                                      // 00000000DFF0: 8008083C
	s_addc_u32 s9, 0, s9                                       // 00000000DFF4: 82090980
	s_mov_b32 s70, 0                                           // 00000000DFF8: BEC60080
	s_and_b32 s71, s72, 0xffffff00                             // 00000000DFFC: 8647FF48 FFFFFF00
	s_mov_b32 s42, 0xff00ff00                                  // 00000000E004: BEAA00FF FF00FF00
	s_mov_b32 s43, 0xff00ff00                                  // 00000000E00C: BEAB00FF FF00FF00
	s_mov_b32 s44, 0xf0f0f0f0                                  // 00000000E014: BEAC00FF F0F0F0F0
	s_mov_b32 s45, 0xf0f0f0f0                                  // 00000000E01C: BEAD00FF F0F0F0F0
	s_mov_b32 s78, 0xff00ff                                    // 00000000E024: BECE00FF 00FF00FF
	s_mov_b32 s79, 0xff00ff                                    // 00000000E02C: BECF00FF 00FF00FF
	v_mul_i32_i24_e64 v63, 64, s66                             // 00000000E034: D106003F 000084C0
	v_mov_b32_e32 v54, s68                                     // 00000000E03C: 7E6C0244
	s_mov_b32 s52, 0x7060302                                   // 00000000E040: BEB400FF 07060302
	s_mov_b32 s53, 0x400                                       // 00000000E048: BEB500FF 00000400
	s_mov_b32 s54, 0x40100                                     // 00000000E050: BEB600FF 00040100
	s_mov_b32 s55, 0x4020100                                   // 00000000E058: BEB700FF 04020100
	s_mov_b32 s6, 0x3fb8aa3b                                   // 00000000E060: BE8600FF 3FB8AA3B
	v_mov_b32_e32 v11, 0xff800000                              // 00000000E068: 7E1602FF FF800000
	v_mov_b32_e32 v12, 0xff800000                              // 00000000E070: 7E1802FF FF800000
	v_mov_b32_e32 v49, 0                                       // 00000000E078: 7E620280
	v_mov_b32_e32 v50, 0                                       // 00000000E07C: 7E640280
	v_mov_b32_e32 v51, 0                                       // 00000000E080: 7E660280
	v_mov_b32_e32 v38, 0                                       // 00000000E084: 7E4C0280
	v_mov_b32_e32 v39, 0                                       // 00000000E088: 7E4E0280
	v_mov_b32_e32 v40, 0                                       // 00000000E08C: 7E500280
	v_mov_b32_e32 v44, 0                                       // 00000000E090: 7E580280
	v_mov_b32_e32 v45, 0                                       // 00000000E094: 7E5A0280
	v_mov_b32_e32 v46, 0                                       // 00000000E098: 7E5C0280
	v_add_u32_e32 v1, s56, v1                                  // 00000000E09C: 68020238
	v_and_b32_e32 v7, 15, v0                                   // 00000000E0A0: 260E008F
	v_lshlrev_b32_e32 v7, 2, v7                                // 00000000E0A4: 240E0E82
	v_lshlrev_b32_e32 v8, 2, v0                                // 00000000E0A8: 24100082
	s_mul_i32 s60, 0x100, s7                                   // 00000000E0AC: 923C07FF 00000100
	v_add_u32_e32 v8, s60, v8                                  // 00000000E0B4: 6810103C
	v_lshrrev_b32_e32 v64, 4, v0                               // 00000000E0B8: 20800084
	v_lshlrev_b32_e32 v65, 6, v64                              // 00000000E0BC: 24828086
	v_and_b32_e32 v64, 15, v0                                  // 00000000E0C0: 2680008F
	v_lshlrev_b32_e32 v64, 1, v64                              // 00000000E0C4: 24808081
	v_add_u32_e32 v65, v64, v65                                // 00000000E0C8: 68828340
	v_lshlrev_b32_e32 v9, 2, v65                               // 00000000E0CC: 24128282
	v_lshrrev_b32_e32 v64, 5, v0                               // 00000000E0D0: 20800085
	v_lshlrev_b32_e32 v65, 5, v64                              // 00000000E0D4: 24828085
	v_and_b32_e32 v64, 31, v0                                  // 00000000E0D8: 2680009F
	v_lshrrev_b32_e32 v66, 4, v64                              // 00000000E0DC: 20848084
	v_add_u32_e32 v65, v66, v65                                // 00000000E0E0: 68828342
	v_and_b32_e32 v64, 15, v0                                  // 00000000E0E4: 2680008F
	v_lshlrev_b32_e32 v64, 1, v64                              // 00000000E0E8: 24808081
	v_add_u32_e32 v65, v64, v65                                // 00000000E0EC: 68828340
	v_lshlrev_b32_e32 v64, 2, v65                              // 00000000E0F0: 24808282
	s_mul_i32 s60, 0x100, s7                                   // 00000000E0F4: 923C07FF 00000100
	v_add_u32_e64 v10, v64, s60                                // 00000000E0FC: D134000A 00007940
	v_lshlrev_b32_e32 v5, 4, v0                                // 00000000E104: 240A0084
	s_mul_i32 s60, s2, s69                                     // 00000000E108: 923C4502
	s_add_u32 s16, s60, s16                                    // 00000000E10C: 8010103C
	s_addc_u32 s17, 0, s17                                     // 00000000E110: 82111180
	v_and_b32_e32 v64, 15, v0                                  // 00000000E114: 2680008F
	v_lshlrev_b32_e32 v6, 4, v64                               // 00000000E118: 240C8084
	s_mul_i32 s61, s2, s69                                     // 00000000E11C: 923D4502
	s_mul_i32 s60, s7, 0x100                                   // 00000000E120: 923CFF07 00000100
	s_add_u32 s60, s60, s61                                    // 00000000E128: 803C3D3C
	s_add_u32 s20, s60, s20                                    // 00000000E12C: 8014143C
	s_addc_u32 s21, 0, s21                                     // 00000000E130: 82151580
	s_waitcnt vmcnt(4)                                         // 00000000E134: BF8C0F74
	v_mul_u32_u24_dpp v64, v16, v54 row_newbcast:0 row_mask:0xf bank_mask:0xf// 00000000E138: 10806CFA FF015010
	v_mul_u32_u24_dpp v65, v16, v54 row_newbcast:4 row_mask:0xf bank_mask:0xf// 00000000E140: 10826CFA FF015410
	v_mul_u32_u24_dpp v66, v16, v54 row_newbcast:8 row_mask:0xf bank_mask:0xf// 00000000E148: 10846CFA FF015810
	v_mul_u32_u24_dpp v67, v16, v54 row_newbcast:12 row_mask:0xf bank_mask:0xf// 00000000E150: 10866CFA FF015C10
	v_add_u32_e32 v22, v64, v5                                 // 00000000E158: 682C0B40
	v_add_u32_e32 v23, v65, v5                                 // 00000000E15C: 682E0B41
	v_add_u32_e32 v24, v66, v5                                 // 00000000E160: 68300B42
	v_add_u32_e32 v25, v67, v5                                 // 00000000E164: 68320B43
	v_mul_u32_u24_dpp v64, v16, v54 row_newbcast:1 row_mask:0xf bank_mask:0xf// 00000000E168: 10806CFA FF015110
	v_mul_u32_u24_dpp v65, v16, v54 row_newbcast:5 row_mask:0xf bank_mask:0xf// 00000000E170: 10826CFA FF015510
	v_mul_u32_u24_dpp v66, v16, v54 row_newbcast:9 row_mask:0xf bank_mask:0xf// 00000000E178: 10846CFA FF015910
	v_mul_u32_u24_dpp v67, v16, v54 row_newbcast:13 row_mask:0xf bank_mask:0xf// 00000000E180: 10866CFA FF015D10
	v_add_u32_e32 v30, v64, v6                                 // 00000000E188: 683C0D40
	v_add_u32_e32 v31, v65, v6                                 // 00000000E18C: 683E0D41
	v_add_u32_e32 v32, v66, v6                                 // 00000000E190: 68400D42
	v_add_u32_e32 v33, v67, v6                                 // 00000000E194: 68420D43
	v_mul_u32_u24_dpp v64, v16, v63 quad_perm:[0,0,0,0] row_mask:0xf bank_mask:0xf// 00000000E198: 10807EFA FF000010
	v_add_u32_e32 v2, v64, v59                                 // 00000000E1A0: 68047740
	v_mul_u32_u24_dpp v64, v16, v63 quad_perm:[0,0,0,0] row_mask:0xf bank_mask:0xf// 00000000E1A4: 10807EFA FF000010
	v_add_u32_e32 v55, v64, v60                                // 00000000E1AC: 686E7940
	buffer_load_dword v42, v2, s[32:35], 0 offen               // 00000000E1B0: E0501000 80082A02
	buffer_load_dwordx4 a[0:3], v22, s[16:19], 0 offen         // 00000000E1B8: E05C1000 80840016
	buffer_load_dwordx4 a[4:7], v22, s[16:19], 0 offen offset:1024// 00000000E1C0: E05C1400 80840416
	buffer_load_dwordx4 a[8:11], v23, s[16:19], 0 offen        // 00000000E1C8: E05C1000 80840817
	buffer_load_dwordx4 a[12:15], v23, s[16:19], 0 offen offset:1024// 00000000E1D0: E05C1400 80840C17
	buffer_load_dwordx4 a[16:19], v24, s[16:19], 0 offen       // 00000000E1D8: E05C1000 80841018
	buffer_load_dwordx4 a[20:23], v24, s[16:19], 0 offen offset:1024// 00000000E1E0: E05C1400 80841418
	buffer_load_dwordx4 a[24:27], v25, s[16:19], 0 offen       // 00000000E1E8: E05C1000 80841819
	buffer_load_dwordx4 a[28:31], v25, s[16:19], 0 offen offset:1024// 00000000E1F0: E05C1400 80841C19
	buffer_load_dword v57, v55, s[36:39], 0 offen              // 00000000E1F8: E0501000 80093937
	buffer_load_dwordx4 a[64:67], v30, s[20:23], 0 offen       // 00000000E200: E05C1000 8085401E
	buffer_load_dwordx4 a[68:71], v31, s[20:23], 0 offen       // 00000000E208: E05C1000 8085441F
	buffer_load_dwordx4 a[72:75], v32, s[20:23], 0 offen       // 00000000E210: E05C1000 80854820
	buffer_load_dwordx4 a[76:79], v33, s[20:23], 0 offen       // 00000000E218: E05C1000 80854C21
	buffer_load_dwordx4 a[80:83], v30, s[20:23], 0 offen offset:1024// 00000000E220: E05C1400 8085501E
	buffer_load_dwordx4 a[84:87], v31, s[20:23], 0 offen offset:1024// 00000000E228: E05C1400 8085541F
	buffer_load_dwordx4 a[88:91], v32, s[20:23], 0 offen offset:1024// 00000000E230: E05C1400 80855820
	buffer_load_dwordx4 a[92:95], v33, s[20:23], 0 offen offset:1024// 00000000E238: E05C1400 80855C21
	v_lshrrev_b32_e32 v64, 4, v0                               // 00000000E240: 20800084
	v_lshlrev_b32_e32 v65, 1, v64                              // 00000000E244: 24828081
	v_and_b32_e32 v64, 15, v0                                  // 00000000E248: 2680008F
	v_mul_i32_i24_e32 v64, 0x42, v64                           // 00000000E24C: 0C8080FF 00000042
	v_add_u32_e32 v65, v64, v65                                // 00000000E254: 68828340
	v_lshlrev_b32_e32 v4, 2, v65                               // 00000000E258: 24088282
	s_mul_i32 s60, s7, 32                                      // 00000000E25C: 923CA007
	v_add_u32_e32 v4, s60, v4                                  // 00000000E260: 6808083C
	s_waitcnt vmcnt(16) lgkmcnt(0)                             // 00000000E264: BF8C4070
	s_barrier                                                  // 00000000E268: BF8A0000
	ds_read_b64 v[80:81], v4                                   // 00000000E26C: D8EC0000 50000004
	ds_read_b64 v[84:85], v4 offset:128                        // 00000000E274: D8EC0080 54000004
	s_waitcnt lgkmcnt(0)                                       // 00000000E27C: BF8CC07F
	v_and_b32_e32 v64, 0xffff, v80                             // 00000000E280: 2680A0FF 0000FFFF
	v_lshrrev_b32_e32 v65, 16, v80                             // 00000000E288: 2082A090
	v_and_b32_e32 v66, 0xffff, v81                             // 00000000E28C: 2684A2FF 0000FFFF
	v_lshrrev_b32_e32 v67, 16, v81                             // 00000000E294: 2086A290
	v_cvt_f32_f16_e32 v80, v64                                 // 00000000E298: 7EA01740
	v_cvt_f32_f16_e32 v81, v65                                 // 00000000E29C: 7EA21741
	v_cvt_f32_f16_e32 v82, v66                                 // 00000000E2A0: 7EA41742
	v_cvt_f32_f16_e32 v83, v67                                 // 00000000E2A4: 7EA61743
	v_and_b32_e32 v64, 0xffff, v84                             // 00000000E2A8: 2680A8FF 0000FFFF
	v_lshrrev_b32_e32 v65, 16, v84                             // 00000000E2B0: 2082A890
	v_and_b32_e32 v66, 0xffff, v85                             // 00000000E2B4: 2684AAFF 0000FFFF
	v_lshrrev_b32_e32 v67, 16, v85                             // 00000000E2BC: 2086AA90
	v_cvt_f32_f16_e32 v84, v64                                 // 00000000E2C0: 7EA81740
	v_cvt_f32_f16_e32 v85, v65                                 // 00000000E2C4: 7EAA1741
	v_cvt_f32_f16_e32 v86, v66                                 // 00000000E2C8: 7EAC1742
	v_cvt_f32_f16_e32 v87, v67                                 // 00000000E2CC: 7EAE1743
	v_mov_b32_e32 v48, 0x358637bd                              // 00000000E2D0: 7E6002FF 358637BD
	v_max3_f32 v48, |v80|, |v81|, v48                          // 00000000E2D8: D1D30330 04C2A350
	v_max3_f32 v48, |v82|, |v83|, v48                          // 00000000E2E0: D1D30330 04C2A752
	v_max3_f32 v48, |v84|, |v85|, v48                          // 00000000E2E8: D1D30330 04C2AB54
	v_max3_f32 v48, |v86|, |v87|, v48                          // 00000000E2F0: D1D30330 04C2AF56
	ds_write_b32 v8, v48 offset:16896                          // 00000000E2F8: D81A4200 00003008
	s_waitcnt lgkmcnt(0)                                       // 00000000E300: BF8CC07F
	s_barrier                                                  // 00000000E304: BF8A0000
	ds_read_b32 v64, v7 offset:16896                           // 00000000E308: D86C4200 40000007
	ds_read_b32 v65, v7 offset:16960                           // 00000000E310: D86C4240 41000007
	ds_read_b32 v66, v7 offset:17024                           // 00000000E318: D86C4280 42000007
	ds_read_b32 v67, v7 offset:17088                           // 00000000E320: D86C42C0 43000007
	ds_read_b32 v68, v7 offset:17152                           // 00000000E328: D86C4300 44000007
	ds_read_b32 v69, v7 offset:17216                           // 00000000E330: D86C4340 45000007
	ds_read_b32 v70, v7 offset:17280                           // 00000000E338: D86C4380 46000007
	ds_read_b32 v71, v7 offset:17344                           // 00000000E340: D86C43C0 47000007
	ds_read_b32 v72, v7 offset:17408                           // 00000000E348: D86C4400 48000007
	ds_read_b32 v73, v7 offset:17472                           // 00000000E350: D86C4440 49000007
	ds_read_b32 v74, v7 offset:17536                           // 00000000E358: D86C4480 4A000007
	ds_read_b32 v75, v7 offset:17600                           // 00000000E360: D86C44C0 4B000007
	ds_read_b32 v76, v7 offset:17664                           // 00000000E368: D86C4500 4C000007
	ds_read_b32 v77, v7 offset:17728                           // 00000000E370: D86C4540 4D000007
	ds_read_b32 v78, v7 offset:17792                           // 00000000E378: D86C4580 4E000007
	ds_read_b32 v79, v7 offset:17856                           // 00000000E380: D86C45C0 4F000007
	s_waitcnt lgkmcnt(0)                                       // 00000000E388: BF8CC07F
	v_max3_f32 v48, |v64|, |v65|, v48                          // 00000000E38C: D1D30330 04C28340
	v_max3_f32 v48, |v66|, |v67|, v48                          // 00000000E394: D1D30330 04C28742
	v_max3_f32 v48, |v68|, |v69|, v48                          // 00000000E39C: D1D30330 04C28B44
	v_max3_f32 v48, |v70|, |v71|, v48                          // 00000000E3A4: D1D30330 04C28F46
	v_max3_f32 v48, |v72|, |v73|, v48                          // 00000000E3AC: D1D30330 04C29348
	v_max3_f32 v48, |v74|, |v75|, v48                          // 00000000E3B4: D1D30330 04C2974A
	v_max3_f32 v48, |v76|, |v77|, v48                          // 00000000E3BC: D1D30330 04C29B4C
	v_max3_f32 v48, |v78|, |v79|, v48                          // 00000000E3C4: D1D30330 04C29F4E
	v_rcp_f32_e32 v48, v48                                     // 00000000E3CC: 7E604530
	s_nop 1                                                    // 00000000E3D0: BF800001
	v_mul_f32_e32 v48, 0x43e00000, v48                         // 00000000E3D4: 0A6060FF 43E00000
	v_mul_f32_e32 v80, v48, v80                                // 00000000E3DC: 0AA0A130
	v_mul_f32_e32 v81, v48, v81                                // 00000000E3E0: 0AA2A330
	v_mul_f32_e32 v82, v48, v82                                // 00000000E3E4: 0AA4A530
	v_mul_f32_e32 v83, v48, v83                                // 00000000E3E8: 0AA6A730
	v_mul_f32_e32 v84, v48, v84                                // 00000000E3EC: 0AA8A930
	v_mul_f32_e32 v85, v48, v85                                // 00000000E3F0: 0AAAAB30
	v_mul_f32_e32 v86, v48, v86                                // 00000000E3F4: 0AACAD30
	v_mul_f32_e32 v87, v48, v87                                // 00000000E3F8: 0AAEAF30
	v_rcp_f32_e32 v18, v48                                     // 00000000E3FC: 7E244530
	v_cvt_pk_fp8_f32 v80, v80, v81                             // 00000000E400: D2A20050 0002A350
	v_cvt_pk_fp8_f32 v80, v82, v83 op_sel:[0,0,1]              // 00000000E408: D2A24050 0002A752
	v_cvt_pk_fp8_f32 v81, v84, v85                             // 00000000E410: D2A20051 0002AB54
	v_cvt_pk_fp8_f32 v81, v86, v87 op_sel:[0,0,1]              // 00000000E418: D2A24051 0002AF56
	ds_write_b32 v10, v80 offset:25088                         // 00000000E420: D81A6200 0000500A
	ds_write_b32 v10, v81 offset:26112                         // 00000000E428: D81A6600 0000510A
	s_waitcnt lgkmcnt(0)                                       // 00000000E430: BF8CC07F
	s_barrier                                                  // 00000000E434: BF8A0000
	ds_read_b64 v[80:81], v9 offset:25088                      // 00000000E438: D8EC6200 50000009
	ds_read_b64 v[82:83], v9 offset:25216                      // 00000000E440: D8EC6280 52000009
	ds_read_b64 v[84:85], v9 offset:26112                      // 00000000E448: D8EC6600 54000009
	ds_read_b64 v[86:87], v9 offset:26240                      // 00000000E450: D8EC6680 56000009
	v_mov_b32_e32 v208, 0                                      // 00000000E458: 7FA00280
	v_mov_b32_e32 v209, 0                                      // 00000000E45C: 7FA20280
	v_mov_b32_e32 v210, 0                                      // 00000000E460: 7FA40280
	v_mov_b32_e32 v211, 0                                      // 00000000E464: 7FA60280
	v_mov_b32_e32 v212, 0                                      // 00000000E468: 7FA80280
	v_mov_b32_e32 v213, 0                                      // 00000000E46C: 7FAA0280
	v_mov_b32_e32 v214, 0                                      // 00000000E470: 7FAC0280
	v_mov_b32_e32 v215, 0                                      // 00000000E474: 7FAE0280
	v_mov_b32_e32 v176, 0                                      // 00000000E478: 7F600280
	v_mov_b32_e32 v177, 0                                      // 00000000E47C: 7F620280
	v_mov_b32_e32 v178, 0                                      // 00000000E480: 7F640280
	v_mov_b32_e32 v179, 0                                      // 00000000E484: 7F660280
	v_mov_b32_e32 v180, 0                                      // 00000000E488: 7F680280
	v_mov_b32_e32 v181, 0                                      // 00000000E48C: 7F6A0280
	v_mov_b32_e32 v182, 0                                      // 00000000E490: 7F6C0280
	v_mov_b32_e32 v183, 0                                      // 00000000E494: 7F6E0280
	ds_read_b64 v[88:89], v4 offset:4224                       // 00000000E498: D8EC1080 58000004
	ds_read_b64 v[92:93], v4 offset:4352                       // 00000000E4A0: D8EC1100 5C000004
	s_waitcnt lgkmcnt(0)                                       // 00000000E4A8: BF8CC07F
	v_and_b32_e32 v64, 0xffff, v88                             // 00000000E4AC: 2680B0FF 0000FFFF
	v_lshrrev_b32_e32 v65, 16, v88                             // 00000000E4B4: 2082B090
	v_and_b32_e32 v66, 0xffff, v89                             // 00000000E4B8: 2684B2FF 0000FFFF
	v_lshrrev_b32_e32 v67, 16, v89                             // 00000000E4C0: 2086B290
	v_cvt_f32_f16_e32 v88, v64                                 // 00000000E4C4: 7EB01740
	v_cvt_f32_f16_e32 v89, v65                                 // 00000000E4C8: 7EB21741
	v_cvt_f32_f16_e32 v90, v66                                 // 00000000E4CC: 7EB41742
	v_cvt_f32_f16_e32 v91, v67                                 // 00000000E4D0: 7EB61743
	v_and_b32_e32 v64, 0xffff, v92                             // 00000000E4D4: 2680B8FF 0000FFFF
	v_lshrrev_b32_e32 v65, 16, v92                             // 00000000E4DC: 2082B890
	v_and_b32_e32 v66, 0xffff, v93                             // 00000000E4E0: 2684BAFF 0000FFFF
	v_lshrrev_b32_e32 v67, 16, v93                             // 00000000E4E8: 2086BA90
	v_cvt_f32_f16_e32 v92, v64                                 // 00000000E4EC: 7EB81740
	v_cvt_f32_f16_e32 v93, v65                                 // 00000000E4F0: 7EBA1741
	v_cvt_f32_f16_e32 v94, v66                                 // 00000000E4F4: 7EBC1742
	v_cvt_f32_f16_e32 v95, v67                                 // 00000000E4F8: 7EBE1743
	v_mov_b32_e32 v48, 0x358637bd                              // 00000000E4FC: 7E6002FF 358637BD
	v_max3_f32 v48, |v88|, |v89|, v48                          // 00000000E504: D1D30330 04C2B358
	v_max3_f32 v48, |v90|, |v91|, v48                          // 00000000E50C: D1D30330 04C2B75A
	v_max3_f32 v48, |v92|, |v93|, v48                          // 00000000E514: D1D30330 04C2BB5C
	v_max3_f32 v48, |v94|, |v95|, v48                          // 00000000E51C: D1D30330 04C2BF5E
	ds_write_b32 v8, v48 offset:16896                          // 00000000E524: D81A4200 00003008
	s_waitcnt lgkmcnt(0)                                       // 00000000E52C: BF8CC07F
	s_barrier                                                  // 00000000E530: BF8A0000
	ds_read_b32 v64, v7 offset:16896                           // 00000000E534: D86C4200 40000007
	ds_read_b32 v65, v7 offset:16960                           // 00000000E53C: D86C4240 41000007
	ds_read_b32 v66, v7 offset:17024                           // 00000000E544: D86C4280 42000007
	ds_read_b32 v67, v7 offset:17088                           // 00000000E54C: D86C42C0 43000007
	ds_read_b32 v68, v7 offset:17152                           // 00000000E554: D86C4300 44000007
	ds_read_b32 v69, v7 offset:17216                           // 00000000E55C: D86C4340 45000007
	ds_read_b32 v70, v7 offset:17280                           // 00000000E564: D86C4380 46000007
	ds_read_b32 v71, v7 offset:17344                           // 00000000E56C: D86C43C0 47000007
	ds_read_b32 v72, v7 offset:17408                           // 00000000E574: D86C4400 48000007
	ds_read_b32 v73, v7 offset:17472                           // 00000000E57C: D86C4440 49000007
	ds_read_b32 v74, v7 offset:17536                           // 00000000E584: D86C4480 4A000007
	ds_read_b32 v75, v7 offset:17600                           // 00000000E58C: D86C44C0 4B000007
	ds_read_b32 v76, v7 offset:17664                           // 00000000E594: D86C4500 4C000007
	ds_read_b32 v77, v7 offset:17728                           // 00000000E59C: D86C4540 4D000007
	ds_read_b32 v78, v7 offset:17792                           // 00000000E5A4: D86C4580 4E000007
	ds_read_b32 v79, v7 offset:17856                           // 00000000E5AC: D86C45C0 4F000007
	s_waitcnt lgkmcnt(0)                                       // 00000000E5B4: BF8CC07F
	v_max3_f32 v48, |v64|, |v65|, v48                          // 00000000E5B8: D1D30330 04C28340
	v_max3_f32 v48, |v66|, |v67|, v48                          // 00000000E5C0: D1D30330 04C28742
	v_max3_f32 v48, |v68|, |v69|, v48                          // 00000000E5C8: D1D30330 04C28B44
	v_max3_f32 v48, |v70|, |v71|, v48                          // 00000000E5D0: D1D30330 04C28F46
	v_max3_f32 v48, |v72|, |v73|, v48                          // 00000000E5D8: D1D30330 04C29348
	v_max3_f32 v48, |v74|, |v75|, v48                          // 00000000E5E0: D1D30330 04C2974A
	v_max3_f32 v48, |v76|, |v77|, v48                          // 00000000E5E8: D1D30330 04C29B4C
	v_max3_f32 v48, |v78|, |v79|, v48                          // 00000000E5F0: D1D30330 04C29F4E
	v_rcp_f32_e32 v48, v48                                     // 00000000E5F8: 7E604530
	s_nop 1                                                    // 00000000E5FC: BF800001
	v_mul_f32_e32 v48, 0x43e00000, v48                         // 00000000E600: 0A6060FF 43E00000
	v_mul_f32_e32 v88, v48, v88                                // 00000000E608: 0AB0B130
	v_mul_f32_e32 v89, v48, v89                                // 00000000E60C: 0AB2B330
	v_mul_f32_e32 v90, v48, v90                                // 00000000E610: 0AB4B530
	v_mul_f32_e32 v91, v48, v91                                // 00000000E614: 0AB6B730
	v_mul_f32_e32 v92, v48, v92                                // 00000000E618: 0AB8B930
	v_mul_f32_e32 v93, v48, v93                                // 00000000E61C: 0ABABB30
	v_mul_f32_e32 v94, v48, v94                                // 00000000E620: 0ABCBD30
	v_mul_f32_e32 v95, v48, v95                                // 00000000E624: 0ABEBF30
	v_rcp_f32_e32 v19, v48                                     // 00000000E628: 7E264530
	v_cvt_pk_fp8_f32 v88, v88, v89                             // 00000000E62C: D2A20058 0002B358
	v_cvt_pk_fp8_f32 v88, v90, v91 op_sel:[0,0,1]              // 00000000E634: D2A24058 0002B75A
	v_cvt_pk_fp8_f32 v89, v92, v93                             // 00000000E63C: D2A20059 0002BB5C
	v_cvt_pk_fp8_f32 v89, v94, v95 op_sel:[0,0,1]              // 00000000E644: D2A24059 0002BF5E
	ds_write_b32 v10, v88 offset:25088                         // 00000000E64C: D81A6200 0000580A
	ds_write_b32 v10, v89 offset:26112                         // 00000000E654: D81A6600 0000590A
	s_waitcnt lgkmcnt(0)                                       // 00000000E65C: BF8CC07F
	s_barrier                                                  // 00000000E660: BF8A0000
	ds_read_b64 v[88:89], v9 offset:25088                      // 00000000E664: D8EC6200 58000009
	ds_read_b64 v[90:91], v9 offset:25216                      // 00000000E66C: D8EC6280 5A000009
	ds_read_b64 v[92:93], v9 offset:26112                      // 00000000E674: D8EC6600 5C000009
	ds_read_b64 v[94:95], v9 offset:26240                      // 00000000E67C: D8EC6680 5E000009
	v_mov_b32_e32 v216, 0                                      // 00000000E684: 7FB00280
	v_mov_b32_e32 v217, 0                                      // 00000000E688: 7FB20280
	v_mov_b32_e32 v218, 0                                      // 00000000E68C: 7FB40280
	v_mov_b32_e32 v219, 0                                      // 00000000E690: 7FB60280
	v_mov_b32_e32 v220, 0                                      // 00000000E694: 7FB80280
	v_mov_b32_e32 v221, 0                                      // 00000000E698: 7FBA0280
	v_mov_b32_e32 v222, 0                                      // 00000000E69C: 7FBC0280
	v_mov_b32_e32 v223, 0                                      // 00000000E6A0: 7FBE0280
	v_mov_b32_e32 v184, 0                                      // 00000000E6A4: 7F700280
	v_mov_b32_e32 v185, 0                                      // 00000000E6A8: 7F720280
	v_mov_b32_e32 v186, 0                                      // 00000000E6AC: 7F740280
	v_mov_b32_e32 v187, 0                                      // 00000000E6B0: 7F760280
	v_mov_b32_e32 v188, 0                                      // 00000000E6B4: 7F780280
	v_mov_b32_e32 v189, 0                                      // 00000000E6B8: 7F7A0280
	v_mov_b32_e32 v190, 0                                      // 00000000E6BC: 7F7C0280
	v_mov_b32_e32 v191, 0                                      // 00000000E6C0: 7F7E0280
	ds_read_b64 v[96:97], v4 offset:8448                       // 00000000E6C4: D8EC2100 60000004
	ds_read_b64 v[100:101], v4 offset:8576                     // 00000000E6CC: D8EC2180 64000004
	s_waitcnt lgkmcnt(0)                                       // 00000000E6D4: BF8CC07F
	v_and_b32_e32 v64, 0xffff, v96                             // 00000000E6D8: 2680C0FF 0000FFFF
	v_lshrrev_b32_e32 v65, 16, v96                             // 00000000E6E0: 2082C090
	v_and_b32_e32 v66, 0xffff, v97                             // 00000000E6E4: 2684C2FF 0000FFFF
	v_lshrrev_b32_e32 v67, 16, v97                             // 00000000E6EC: 2086C290
	v_cvt_f32_f16_e32 v96, v64                                 // 00000000E6F0: 7EC01740
	v_cvt_f32_f16_e32 v97, v65                                 // 00000000E6F4: 7EC21741
	v_cvt_f32_f16_e32 v98, v66                                 // 00000000E6F8: 7EC41742
	v_cvt_f32_f16_e32 v99, v67                                 // 00000000E6FC: 7EC61743
	v_and_b32_e32 v64, 0xffff, v100                            // 00000000E700: 2680C8FF 0000FFFF
	v_lshrrev_b32_e32 v65, 16, v100                            // 00000000E708: 2082C890
	v_and_b32_e32 v66, 0xffff, v101                            // 00000000E70C: 2684CAFF 0000FFFF
	v_lshrrev_b32_e32 v67, 16, v101                            // 00000000E714: 2086CA90
	v_cvt_f32_f16_e32 v100, v64                                // 00000000E718: 7EC81740
	v_cvt_f32_f16_e32 v101, v65                                // 00000000E71C: 7ECA1741
	v_cvt_f32_f16_e32 v102, v66                                // 00000000E720: 7ECC1742
	v_cvt_f32_f16_e32 v103, v67                                // 00000000E724: 7ECE1743
	v_mov_b32_e32 v48, 0x358637bd                              // 00000000E728: 7E6002FF 358637BD
	v_max3_f32 v48, |v96|, |v97|, v48                          // 00000000E730: D1D30330 04C2C360
	v_max3_f32 v48, |v98|, |v99|, v48                          // 00000000E738: D1D30330 04C2C762
	v_max3_f32 v48, |v100|, |v101|, v48                        // 00000000E740: D1D30330 04C2CB64
	v_max3_f32 v48, |v102|, |v103|, v48                        // 00000000E748: D1D30330 04C2CF66
	ds_write_b32 v8, v48 offset:16896                          // 00000000E750: D81A4200 00003008
	s_waitcnt lgkmcnt(0)                                       // 00000000E758: BF8CC07F
	s_barrier                                                  // 00000000E75C: BF8A0000
	ds_read_b32 v64, v7 offset:16896                           // 00000000E760: D86C4200 40000007
	ds_read_b32 v65, v7 offset:16960                           // 00000000E768: D86C4240 41000007
	ds_read_b32 v66, v7 offset:17024                           // 00000000E770: D86C4280 42000007
	ds_read_b32 v67, v7 offset:17088                           // 00000000E778: D86C42C0 43000007
	ds_read_b32 v68, v7 offset:17152                           // 00000000E780: D86C4300 44000007
	ds_read_b32 v69, v7 offset:17216                           // 00000000E788: D86C4340 45000007
	ds_read_b32 v70, v7 offset:17280                           // 00000000E790: D86C4380 46000007
	ds_read_b32 v71, v7 offset:17344                           // 00000000E798: D86C43C0 47000007
	ds_read_b32 v72, v7 offset:17408                           // 00000000E7A0: D86C4400 48000007
	ds_read_b32 v73, v7 offset:17472                           // 00000000E7A8: D86C4440 49000007
	ds_read_b32 v74, v7 offset:17536                           // 00000000E7B0: D86C4480 4A000007
	ds_read_b32 v75, v7 offset:17600                           // 00000000E7B8: D86C44C0 4B000007
	ds_read_b32 v76, v7 offset:17664                           // 00000000E7C0: D86C4500 4C000007
	ds_read_b32 v77, v7 offset:17728                           // 00000000E7C8: D86C4540 4D000007
	ds_read_b32 v78, v7 offset:17792                           // 00000000E7D0: D86C4580 4E000007
	ds_read_b32 v79, v7 offset:17856                           // 00000000E7D8: D86C45C0 4F000007
	s_waitcnt lgkmcnt(0)                                       // 00000000E7E0: BF8CC07F
	v_max3_f32 v48, |v64|, |v65|, v48                          // 00000000E7E4: D1D30330 04C28340
	v_max3_f32 v48, |v66|, |v67|, v48                          // 00000000E7EC: D1D30330 04C28742
	v_max3_f32 v48, |v68|, |v69|, v48                          // 00000000E7F4: D1D30330 04C28B44
	v_max3_f32 v48, |v70|, |v71|, v48                          // 00000000E7FC: D1D30330 04C28F46
	v_max3_f32 v48, |v72|, |v73|, v48                          // 00000000E804: D1D30330 04C29348
	v_max3_f32 v48, |v74|, |v75|, v48                          // 00000000E80C: D1D30330 04C2974A
	v_max3_f32 v48, |v76|, |v77|, v48                          // 00000000E814: D1D30330 04C29B4C
	v_max3_f32 v48, |v78|, |v79|, v48                          // 00000000E81C: D1D30330 04C29F4E
	v_rcp_f32_e32 v48, v48                                     // 00000000E824: 7E604530
	s_nop 1                                                    // 00000000E828: BF800001
	v_mul_f32_e32 v48, 0x43e00000, v48                         // 00000000E82C: 0A6060FF 43E00000
	v_mul_f32_e32 v96, v48, v96                                // 00000000E834: 0AC0C130
	v_mul_f32_e32 v97, v48, v97                                // 00000000E838: 0AC2C330
	v_mul_f32_e32 v98, v48, v98                                // 00000000E83C: 0AC4C530
	v_mul_f32_e32 v99, v48, v99                                // 00000000E840: 0AC6C730
	v_mul_f32_e32 v100, v48, v100                              // 00000000E844: 0AC8C930
	v_mul_f32_e32 v101, v48, v101                              // 00000000E848: 0ACACB30
	v_mul_f32_e32 v102, v48, v102                              // 00000000E84C: 0ACCCD30
	v_mul_f32_e32 v103, v48, v103                              // 00000000E850: 0ACECF30
	v_rcp_f32_e32 v20, v48                                     // 00000000E854: 7E284530
	v_cvt_pk_fp8_f32 v96, v96, v97                             // 00000000E858: D2A20060 0002C360
	v_cvt_pk_fp8_f32 v96, v98, v99 op_sel:[0,0,1]              // 00000000E860: D2A24060 0002C762
	v_cvt_pk_fp8_f32 v97, v100, v101                           // 00000000E868: D2A20061 0002CB64
	v_cvt_pk_fp8_f32 v97, v102, v103 op_sel:[0,0,1]            // 00000000E870: D2A24061 0002CF66
	ds_write_b32 v10, v96 offset:25088                         // 00000000E878: D81A6200 0000600A
	ds_write_b32 v10, v97 offset:26112                         // 00000000E880: D81A6600 0000610A
	s_waitcnt lgkmcnt(0)                                       // 00000000E888: BF8CC07F
	s_barrier                                                  // 00000000E88C: BF8A0000
	ds_read_b64 v[96:97], v9 offset:25088                      // 00000000E890: D8EC6200 60000009
	ds_read_b64 v[98:99], v9 offset:25216                      // 00000000E898: D8EC6280 62000009
	ds_read_b64 v[100:101], v9 offset:26112                    // 00000000E8A0: D8EC6600 64000009
	ds_read_b64 v[102:103], v9 offset:26240                    // 00000000E8A8: D8EC6680 66000009
	v_mov_b32_e32 v224, 0                                      // 00000000E8B0: 7FC00280
	v_mov_b32_e32 v225, 0                                      // 00000000E8B4: 7FC20280
	v_mov_b32_e32 v226, 0                                      // 00000000E8B8: 7FC40280
	v_mov_b32_e32 v227, 0                                      // 00000000E8BC: 7FC60280
	v_mov_b32_e32 v228, 0                                      // 00000000E8C0: 7FC80280
	v_mov_b32_e32 v229, 0                                      // 00000000E8C4: 7FCA0280
	v_mov_b32_e32 v230, 0                                      // 00000000E8C8: 7FCC0280
	v_mov_b32_e32 v231, 0                                      // 00000000E8CC: 7FCE0280
	v_mov_b32_e32 v192, 0                                      // 00000000E8D0: 7F800280
	v_mov_b32_e32 v193, 0                                      // 00000000E8D4: 7F820280
	v_mov_b32_e32 v194, 0                                      // 00000000E8D8: 7F840280
	v_mov_b32_e32 v195, 0                                      // 00000000E8DC: 7F860280
	v_mov_b32_e32 v196, 0                                      // 00000000E8E0: 7F880280
	v_mov_b32_e32 v197, 0                                      // 00000000E8E4: 7F8A0280
	v_mov_b32_e32 v198, 0                                      // 00000000E8E8: 7F8C0280
	v_mov_b32_e32 v199, 0                                      // 00000000E8EC: 7F8E0280
	s_waitcnt vmcnt(8) lgkmcnt(0)                              // 00000000E8F0: BF8C0078
	s_barrier                                                  // 00000000E8F4: BF8A0000
	s_cmp_lt_u32 s73, 16                                       // 00000000E8F8: BF0A9049
	s_cbranch_scc1 label_4A9F                                  // 00000000E8FC: BF8518DF
	s_cmp_lt_i32 s7, 2                                         // 00000000E900: BF048207
	s_cbranch_scc0 label_3E32                                  // 00000000E904: BF840C70

000000000000e908 <label_31C2>:
	s_waitcnt vmcnt(8) lgkmcnt(0)                              // 00000000E908: BF8C0078
	v_mul_u32_u24_dpp v64, v17, v54 row_newbcast:0 row_mask:0xf bank_mask:0xf// 00000000E90C: 10806CFA FF015011
	v_mul_u32_u24_dpp v65, v17, v54 row_newbcast:4 row_mask:0xf bank_mask:0xf// 00000000E914: 10826CFA FF015411
	v_mul_u32_u24_dpp v66, v17, v54 row_newbcast:8 row_mask:0xf bank_mask:0xf// 00000000E91C: 10846CFA FF015811
	v_mul_u32_u24_dpp v67, v17, v54 row_newbcast:12 row_mask:0xf bank_mask:0xf// 00000000E924: 10866CFA FF015C11
	v_add_u32_e32 v26, v64, v5                                 // 00000000E92C: 68340B40
	v_add_u32_e32 v27, v65, v5                                 // 00000000E930: 68360B41
	v_add_u32_e32 v28, v66, v5                                 // 00000000E934: 68380B42
	v_add_u32_e32 v29, v67, v5                                 // 00000000E938: 683A0B43
	v_mul_u32_u24_dpp v64, v17, v63 quad_perm:[0,0,0,0] row_mask:0xf bank_mask:0xf// 00000000E93C: 10807EFA FF000011
	v_add_u32_e32 v3, v64, v59                                 // 00000000E944: 68067740
	v_mul_u32_u24_dpp v64, v17, v63 quad_perm:[0,0,0,0] row_mask:0xf bank_mask:0xf// 00000000E948: 10807EFA FF000011
	v_add_u32_e32 v56, v64, v60                                // 00000000E950: 68707940
	v_mfma_f32_16x16x32_fp8_fp8 v[112:115], a[0:1], v[80:81], 0// 00000000E954: D3F30070 0A02A100
	v_mfma_f32_16x16x32_fp8_fp8 v[112:115], a[2:3], v[82:83], v[112:115]// 00000000E95C: D3F30070 0DC2A502
	buffer_load_dwordx4 a[32:35], v26, s[16:19], 0 offen       // 00000000E964: E05C1000 8084201A
	v_mfma_f32_16x16x32_fp8_fp8 v[112:115], a[4:5], v[84:85], v[112:115]// 00000000E96C: D3F30070 0DC2A904
	v_mfma_f32_16x16x32_fp8_fp8 v[112:115], a[6:7], v[86:87], v[112:115]// 00000000E974: D3F30070 0DC2AD06
	buffer_load_dword v16, v1, s[24:27], 0 offen               // 00000000E97C: E0501000 80061001
	v_mfma_f32_16x16x32_fp8_fp8 v[116:119], a[8:9], v[80:81], 0// 00000000E984: D3F30074 0A02A108
	v_mfma_f32_16x16x32_fp8_fp8 v[116:119], a[10:11], v[82:83], v[116:119]// 00000000E98C: D3F30074 0DD2A50A
	buffer_load_dwordx4 a[36:39], v26, s[16:19], 0 offen offset:1024// 00000000E994: E05C1400 8084241A
	v_mfma_f32_16x16x32_fp8_fp8 v[116:119], a[12:13], v[84:85], v[116:119]// 00000000E99C: D3F30074 0DD2A90C
	v_mfma_f32_16x16x32_fp8_fp8 v[116:119], a[14:15], v[86:87], v[116:119]// 00000000E9A4: D3F30074 0DD2AD0E
	v_mfma_f32_16x16x32_fp8_fp8 v[120:123], a[16:17], v[80:81], 0// 00000000E9AC: D3F30078 0A02A110
	v_mfma_f32_16x16x32_fp8_fp8 v[120:123], a[18:19], v[82:83], v[120:123]// 00000000E9B4: D3F30078 0DE2A512
	buffer_load_dwordx4 a[40:43], v27, s[16:19], 0 offen       // 00000000E9BC: E05C1000 8084281B
	v_mfma_f32_16x16x32_fp8_fp8 v[120:123], a[20:21], v[84:85], v[120:123]// 00000000E9C4: D3F30078 0DE2A914
	v_mfma_f32_16x16x32_fp8_fp8 v[120:123], a[22:23], v[86:87], v[120:123]// 00000000E9CC: D3F30078 0DE2AD16
	v_mfma_f32_16x16x32_fp8_fp8 v[124:127], a[24:25], v[80:81], 0// 00000000E9D4: D3F3007C 0A02A118
	v_mfma_f32_16x16x32_fp8_fp8 v[124:127], a[26:27], v[82:83], v[124:127]// 00000000E9DC: D3F3007C 0DF2A51A
	buffer_load_dwordx4 a[44:47], v27, s[16:19], 0 offen offset:1024// 00000000E9E4: E05C1400 80842C1B
	v_mfma_f32_16x16x32_fp8_fp8 v[124:127], a[28:29], v[84:85], v[124:127]// 00000000E9EC: D3F3007C 0DF2A91C
	v_mfma_f32_16x16x32_fp8_fp8 v[124:127], a[30:31], v[86:87], v[124:127]// 00000000E9F4: D3F3007C 0DF2AD1E
	v_mfma_f32_16x16x32_fp8_fp8 v[128:131], a[0:1], v[88:89], 0// 00000000E9FC: D3F30080 0A02B100
	v_mfma_f32_16x16x32_fp8_fp8 v[128:131], a[2:3], v[90:91], v[128:131]// 00000000EA04: D3F30080 0E02B502
	v_mfma_f32_16x16x32_fp8_fp8 v[128:131], a[4:5], v[92:93], v[128:131]// 00000000EA0C: D3F30080 0E02B904
	v_mfma_f32_16x16x32_fp8_fp8 v[128:131], a[6:7], v[94:95], v[128:131]// 00000000EA14: D3F30080 0E02BD06
	v_mfma_f32_16x16x32_fp8_fp8 v[132:135], a[8:9], v[88:89], 0// 00000000EA1C: D3F30084 0A02B108
	v_mfma_f32_16x16x32_fp8_fp8 v[132:135], a[10:11], v[90:91], v[132:135]// 00000000EA24: D3F30084 0E12B50A
	v_mfma_f32_16x16x32_fp8_fp8 v[132:135], a[12:13], v[92:93], v[132:135]// 00000000EA2C: D3F30084 0E12B90C
	v_mfma_f32_16x16x32_fp8_fp8 v[132:135], a[14:15], v[94:95], v[132:135]// 00000000EA34: D3F30084 0E12BD0E
	v_mfma_f32_16x16x32_fp8_fp8 v[136:139], a[16:17], v[88:89], 0// 00000000EA3C: D3F30088 0A02B110
	v_mfma_f32_16x16x32_fp8_fp8 v[136:139], a[18:19], v[90:91], v[136:139]// 00000000EA44: D3F30088 0E22B512
	v_mfma_f32_16x16x32_fp8_fp8 v[136:139], a[20:21], v[92:93], v[136:139]// 00000000EA4C: D3F30088 0E22B914
	v_mfma_f32_16x16x32_fp8_fp8 v[136:139], a[22:23], v[94:95], v[136:139]// 00000000EA54: D3F30088 0E22BD16
	v_mfma_f32_16x16x32_fp8_fp8 v[140:143], a[24:25], v[88:89], 0// 00000000EA5C: D3F3008C 0A02B118
	v_mfma_f32_16x16x32_fp8_fp8 v[140:143], a[26:27], v[90:91], v[140:143]// 00000000EA64: D3F3008C 0E32B51A
	v_mfma_f32_16x16x32_fp8_fp8 v[140:143], a[28:29], v[92:93], v[140:143]// 00000000EA6C: D3F3008C 0E32B91C
	v_mfma_f32_16x16x32_fp8_fp8 v[140:143], a[30:31], v[94:95], v[140:143]// 00000000EA74: D3F3008C 0E32BD1E
	v_mfma_f32_16x16x32_fp8_fp8 v[144:147], a[0:1], v[96:97], 0// 00000000EA7C: D3F30090 0A02C100
	v_mfma_f32_16x16x32_fp8_fp8 v[144:147], a[2:3], v[98:99], v[144:147]// 00000000EA84: D3F30090 0E42C502
	v_mfma_f32_16x16x32_fp8_fp8 v[144:147], a[4:5], v[100:101], v[144:147]// 00000000EA8C: D3F30090 0E42C904
	v_mfma_f32_16x16x32_fp8_fp8 v[144:147], a[6:7], v[102:103], v[144:147]// 00000000EA94: D3F30090 0E42CD06
	v_mfma_f32_16x16x32_fp8_fp8 v[148:151], a[8:9], v[96:97], 0// 00000000EA9C: D3F30094 0A02C108
	v_mfma_f32_16x16x32_fp8_fp8 v[148:151], a[10:11], v[98:99], v[148:151]// 00000000EAA4: D3F30094 0E52C50A
	v_mfma_f32_16x16x32_fp8_fp8 v[148:151], a[12:13], v[100:101], v[148:151]// 00000000EAAC: D3F30094 0E52C90C
	v_mfma_f32_16x16x32_fp8_fp8 v[148:151], a[14:15], v[102:103], v[148:151]// 00000000EAB4: D3F30094 0E52CD0E
	v_mfma_f32_16x16x32_fp8_fp8 v[152:155], a[16:17], v[96:97], 0// 00000000EABC: D3F30098 0A02C110
	v_mfma_f32_16x16x32_fp8_fp8 v[152:155], a[18:19], v[98:99], v[152:155]// 00000000EAC4: D3F30098 0E62C512
	v_mfma_f32_16x16x32_fp8_fp8 v[152:155], a[20:21], v[100:101], v[152:155]// 00000000EACC: D3F30098 0E62C914
	v_mfma_f32_16x16x32_fp8_fp8 v[152:155], a[22:23], v[102:103], v[152:155]// 00000000EAD4: D3F30098 0E62CD16
	v_mfma_f32_16x16x32_fp8_fp8 v[156:159], a[24:25], v[96:97], 0// 00000000EADC: D3F3009C 0A02C118
	v_mfma_f32_16x16x32_fp8_fp8 v[156:159], a[26:27], v[98:99], v[156:159]// 00000000EAE4: D3F3009C 0E72C51A
	v_mfma_f32_16x16x32_fp8_fp8 v[156:159], a[28:29], v[100:101], v[156:159]// 00000000EAEC: D3F3009C 0E72C91C
	v_mfma_f32_16x16x32_fp8_fp8 v[156:159], a[30:31], v[102:103], v[156:159]// 00000000EAF4: D3F3009C 0E72CD1E
	buffer_load_dword v43, v3, s[32:35], 0 offen               // 00000000EAFC: E0501000 80082B03
	v_mov_b32_dpp v64, v42 row_shr:4 row_mask:0xf bank_mask:0xf// 00000000EB04: 7E8002FA FF01142A
	v_mov_b32_dpp v65, v42 row_shl:4 row_mask:0xf bank_mask:0xf// 00000000EB0C: 7E8202FA FF01042A
	v_cndmask_b32_e64 v248, v42, v64, s[44:45]                 // 00000000EB14: D10000F8 00B2812A
	v_cndmask_b32_e64 v249, v65, v42, s[44:45]                 // 00000000EB1C: D10000F9 00B25541
	v_mov_b32_dpp v64, v248 row_shr:8 row_mask:0xf bank_mask:0xf// 00000000EB24: 7E8002FA FF0118F8
	v_mov_b32_dpp v65, v248 row_shl:8 row_mask:0xf bank_mask:0xf// 00000000EB2C: 7E8202FA FF0108F8
	v_mov_b32_dpp v66, v249 row_shr:8 row_mask:0xf bank_mask:0xf// 00000000EB34: 7E8402FA FF0118F9
	v_mov_b32_dpp v67, v249 row_shl:8 row_mask:0xf bank_mask:0xf// 00000000EB3C: 7E8602FA FF0108F9
	v_mov_b32_e32 v68, v248                                    // 00000000EB44: 7E8803F8
	v_mov_b32_e32 v69, v249                                    // 00000000EB48: 7E8A03F9
	v_cndmask_b32_e64 v248, v68, v64, s[42:43]                 // 00000000EB4C: D10000F8 00AA8144
	v_cndmask_b32_e64 v250, v68, v65, s[78:79]                 // 00000000EB54: D10000FA 013A8344
	v_cndmask_b32_e64 v249, v69, v66, s[42:43]                 // 00000000EB5C: D10000F9 00AA8545
	v_cndmask_b32_e64 v251, v69, v67, s[78:79]                 // 00000000EB64: D10000FB 013A8745
	v_mov_b32_dpp v64, v57 row_shr:4 row_mask:0xf bank_mask:0xf// 00000000EB6C: 7E8002FA FF011439
	v_mov_b32_dpp v65, v57 row_shl:4 row_mask:0xf bank_mask:0xf// 00000000EB74: 7E8202FA FF010439
	v_cndmask_b32_e64 v252, v57, v64, s[44:45]                 // 00000000EB7C: D10000FC 00B28139
	v_cndmask_b32_e64 v253, v65, v57, s[44:45]                 // 00000000EB84: D10000FD 00B27341
	v_mov_b32_dpp v64, v252 row_shr:8 row_mask:0xf bank_mask:0xf// 00000000EB8C: 7E8002FA FF0118FC
	v_mov_b32_dpp v65, v252 row_shl:8 row_mask:0xf bank_mask:0xf// 00000000EB94: 7E8202FA FF0108FC
	v_mov_b32_dpp v66, v253 row_shr:8 row_mask:0xf bank_mask:0xf// 00000000EB9C: 7E8402FA FF0118FD
	v_mov_b32_dpp v67, v253 row_shl:8 row_mask:0xf bank_mask:0xf// 00000000EBA4: 7E8602FA FF0108FD
	v_mov_b32_e32 v68, v252                                    // 00000000EBAC: 7E8803FC
	v_mov_b32_e32 v69, v253                                    // 00000000EBB0: 7E8A03FD
	v_cndmask_b32_e64 v252, v68, v64, s[42:43]                 // 00000000EBB4: D10000FC 00AA8144
	v_cndmask_b32_e64 v254, v68, v65, s[78:79]                 // 00000000EBBC: D10000FE 013A8344
	v_cndmask_b32_e64 v253, v69, v66, s[42:43]                 // 00000000EBC4: D10000FD 00AA8545
	v_cndmask_b32_e64 v255, v69, v67, s[78:79]                 // 00000000EBCC: D10000FF 013A8745
	buffer_load_dword v58, v56, s[36:39], 0 offen              // 00000000EBD4: E0501000 80093A38
	v_mul_f32_e32 v112, v18, v112                              // 00000000EBDC: 0AE0E112
	v_mul_f32_e32 v113, v18, v113                              // 00000000EBE0: 0AE2E312
	v_mul_f32_e32 v114, v18, v114                              // 00000000EBE4: 0AE4E512
	v_mul_f32_e32 v115, v18, v115                              // 00000000EBE8: 0AE6E712
	v_mul_f32_e32 v116, v18, v116                              // 00000000EBEC: 0AE8E912
	v_mul_f32_e32 v117, v18, v117                              // 00000000EBF0: 0AEAEB12
	v_mul_f32_e32 v118, v18, v118                              // 00000000EBF4: 0AECED12
	v_mul_f32_e32 v119, v18, v119                              // 00000000EBF8: 0AEEEF12
	v_mul_f32_e32 v120, v18, v120                              // 00000000EBFC: 0AF0F112
	v_mul_f32_e32 v121, v18, v121                              // 00000000EC00: 0AF2F312
	v_mul_f32_e32 v122, v18, v122                              // 00000000EC04: 0AF4F512
	v_mul_f32_e32 v123, v18, v123                              // 00000000EC08: 0AF6F712
	v_mul_f32_e32 v124, v18, v124                              // 00000000EC0C: 0AF8F912
	v_mul_f32_e32 v125, v18, v125                              // 00000000EC10: 0AFAFB12
	v_mul_f32_e32 v126, v18, v126                              // 00000000EC14: 0AFCFD12
	v_mul_f32_e32 v127, v18, v127                              // 00000000EC18: 0AFEFF12
	buffer_load_dwordx4 a[48:51], v28, s[16:19], 0 offen       // 00000000EC1C: E05C1000 8084301C
	v_mul_f32_dpp v112, v248, v112 quad_perm:[0,0,0,0] row_mask:0xf bank_mask:0xf// 00000000EC24: 0AE0E0FA FF0000F8
	v_mul_f32_dpp v113, v248, v113 quad_perm:[1,1,1,1] row_mask:0xf bank_mask:0xf// 00000000EC2C: 0AE2E2FA FF0055F8
	v_mul_f32_dpp v114, v248, v114 quad_perm:[2,2,2,2] row_mask:0xf bank_mask:0xf// 00000000EC34: 0AE4E4FA FF00AAF8
	v_mul_f32_dpp v115, v248, v115 quad_perm:[3,3,3,3] row_mask:0xf bank_mask:0xf// 00000000EC3C: 0AE6E6FA FF00FFF8
	v_mul_f32_dpp v116, v249, v116 quad_perm:[0,0,0,0] row_mask:0xf bank_mask:0xf// 00000000EC44: 0AE8E8FA FF0000F9
	v_mul_f32_dpp v117, v249, v117 quad_perm:[1,1,1,1] row_mask:0xf bank_mask:0xf// 00000000EC4C: 0AEAEAFA FF0055F9
	v_mul_f32_dpp v118, v249, v118 quad_perm:[2,2,2,2] row_mask:0xf bank_mask:0xf// 00000000EC54: 0AECECFA FF00AAF9
	v_mul_f32_dpp v119, v249, v119 quad_perm:[3,3,3,3] row_mask:0xf bank_mask:0xf// 00000000EC5C: 0AEEEEFA FF00FFF9
	v_mul_f32_dpp v120, v250, v120 quad_perm:[0,0,0,0] row_mask:0xf bank_mask:0xf// 00000000EC64: 0AF0F0FA FF0000FA
	v_mul_f32_dpp v121, v250, v121 quad_perm:[1,1,1,1] row_mask:0xf bank_mask:0xf// 00000000EC6C: 0AF2F2FA FF0055FA
	v_mul_f32_dpp v122, v250, v122 quad_perm:[2,2,2,2] row_mask:0xf bank_mask:0xf// 00000000EC74: 0AF4F4FA FF00AAFA
	v_mul_f32_dpp v123, v250, v123 quad_perm:[3,3,3,3] row_mask:0xf bank_mask:0xf// 00000000EC7C: 0AF6F6FA FF00FFFA
	v_mul_f32_dpp v124, v251, v124 quad_perm:[0,0,0,0] row_mask:0xf bank_mask:0xf// 00000000EC84: 0AF8F8FA FF0000FB
	v_mul_f32_dpp v125, v251, v125 quad_perm:[1,1,1,1] row_mask:0xf bank_mask:0xf// 00000000EC8C: 0AFAFAFA FF0055FB
	v_mul_f32_dpp v126, v251, v126 quad_perm:[2,2,2,2] row_mask:0xf bank_mask:0xf// 00000000EC94: 0AFCFCFA FF00AAFB
	v_mul_f32_dpp v127, v251, v127 quad_perm:[3,3,3,3] row_mask:0xf bank_mask:0xf// 00000000EC9C: 0AFEFEFA FF00FFFB
	buffer_load_dwordx4 a[52:55], v28, s[16:19], 0 offen offset:1024// 00000000ECA4: E05C1400 8084341C
	v_mov_b32_e32 v48, v112                                    // 00000000ECAC: 7E600370
	v_max3_f32 v48, v112, v113, v48                            // 00000000ECB0: D1D30030 04C2E370
	v_max3_f32 v48, v114, v115, v48                            // 00000000ECB8: D1D30030 04C2E772
	v_max3_f32 v48, v116, v117, v48                            // 00000000ECC0: D1D30030 04C2EB74
	v_max3_f32 v48, v118, v119, v48                            // 00000000ECC8: D1D30030 04C2EF76
	v_max3_f32 v48, v120, v121, v48                            // 00000000ECD0: D1D30030 04C2F378
	v_max3_f32 v48, v122, v123, v48                            // 00000000ECD8: D1D30030 04C2F77A
	v_max3_f32 v48, v124, v125, v48                            // 00000000ECE0: D1D30030 04C2FB7C
	v_max3_f32 v48, v126, v127, v48                            // 00000000ECE8: D1D30030 04C2FF7E
	ds_write_b32 v8, v48 offset:16896                          // 00000000ECF0: D81A4200 00003008
	buffer_load_dwordx4 a[56:59], v29, s[16:19], 0 offen       // 00000000ECF8: E05C1000 8084381D
	v_mul_u32_u24_dpp v64, v17, v54 row_newbcast:1 row_mask:0xf bank_mask:0xf// 00000000ED00: 10806CFA FF015111
	v_mul_u32_u24_dpp v65, v17, v54 row_newbcast:5 row_mask:0xf bank_mask:0xf// 00000000ED08: 10826CFA FF015511
	v_mul_u32_u24_dpp v66, v17, v54 row_newbcast:9 row_mask:0xf bank_mask:0xf// 00000000ED10: 10846CFA FF015911
	v_mul_u32_u24_dpp v67, v17, v54 row_newbcast:13 row_mask:0xf bank_mask:0xf// 00000000ED18: 10866CFA FF015D11
	v_add_u32_e32 v34, v64, v6                                 // 00000000ED20: 68440D40
	v_add_u32_e32 v35, v65, v6                                 // 00000000ED24: 68460D41
	v_add_u32_e32 v36, v66, v6                                 // 00000000ED28: 68480D42
	v_add_u32_e32 v37, v67, v6                                 // 00000000ED2C: 684A0D43
	v_mul_f32_e32 v208, v49, v208                              // 00000000ED30: 0BA1A131
	v_mul_f32_e32 v209, v49, v209                              // 00000000ED34: 0BA3A331
	v_mul_f32_e32 v210, v49, v210                              // 00000000ED38: 0BA5A531
	v_mul_f32_e32 v211, v49, v211                              // 00000000ED3C: 0BA7A731
	v_mul_f32_e32 v212, v49, v212                              // 00000000ED40: 0BA9A931
	v_mul_f32_e32 v213, v49, v213                              // 00000000ED44: 0BABAB31
	v_mul_f32_e32 v214, v49, v214                              // 00000000ED48: 0BADAD31
	v_mul_f32_e32 v215, v49, v215                              // 00000000ED4C: 0BAFAF31
	s_waitcnt lgkmcnt(0)                                       // 00000000ED50: BF8CC07F
	s_barrier                                                  // 00000000ED54: BF8A0000
	ds_read_b32 v64, v7 offset:16896                           // 00000000ED58: D86C4200 40000007
	ds_read_b32 v65, v7 offset:16960                           // 00000000ED60: D86C4240 41000007
	ds_read_b32 v66, v7 offset:17024                           // 00000000ED68: D86C4280 42000007
	ds_read_b32 v67, v7 offset:17088                           // 00000000ED70: D86C42C0 43000007
	ds_read_b32 v68, v7 offset:17152                           // 00000000ED78: D86C4300 44000007
	ds_read_b32 v69, v7 offset:17216                           // 00000000ED80: D86C4340 45000007
	ds_read_b32 v70, v7 offset:17280                           // 00000000ED88: D86C4380 46000007
	ds_read_b32 v71, v7 offset:17344                           // 00000000ED90: D86C43C0 47000007
	ds_read_b32 v72, v7 offset:17408                           // 00000000ED98: D86C4400 48000007
	ds_read_b32 v73, v7 offset:17472                           // 00000000EDA0: D86C4440 49000007
	ds_read_b32 v74, v7 offset:17536                           // 00000000EDA8: D86C4480 4A000007
	ds_read_b32 v75, v7 offset:17600                           // 00000000EDB0: D86C44C0 4B000007
	ds_read_b32 v76, v7 offset:17664                           // 00000000EDB8: D86C4500 4C000007
	ds_read_b32 v77, v7 offset:17728                           // 00000000EDC0: D86C4540 4D000007
	ds_read_b32 v78, v7 offset:17792                           // 00000000EDC8: D86C4580 4E000007
	ds_read_b32 v79, v7 offset:17856                           // 00000000EDD0: D86C45C0 4F000007
	buffer_load_dwordx4 a[60:63], v29, s[16:19], 0 offen offset:1024// 00000000EDD8: E05C1400 80843C1D
	v_mul_f32_e32 v176, v44, v176                              // 00000000EDE0: 0B61612C
	v_mul_f32_e32 v177, v44, v177                              // 00000000EDE4: 0B63632C
	v_mul_f32_e32 v178, v44, v178                              // 00000000EDE8: 0B65652C
	v_mul_f32_e32 v179, v44, v179                              // 00000000EDEC: 0B67672C
	v_mul_f32_e32 v180, v44, v180                              // 00000000EDF0: 0B69692C
	v_mul_f32_e32 v181, v44, v181                              // 00000000EDF4: 0B6B6B2C
	v_mul_f32_e32 v182, v44, v182                              // 00000000EDF8: 0B6D6D2C
	v_mul_f32_e32 v183, v44, v183                              // 00000000EDFC: 0B6F6F2C
	s_waitcnt lgkmcnt(0)                                       // 00000000EE00: BF8CC07F
	v_max3_f32 v48, v64, v65, v48                              // 00000000EE04: D1D30030 04C28340
	v_max3_f32 v48, v66, v67, v48                              // 00000000EE0C: D1D30030 04C28742
	v_max3_f32 v48, v68, v69, v48                              // 00000000EE14: D1D30030 04C28B44
	v_max3_f32 v48, v70, v71, v48                              // 00000000EE1C: D1D30030 04C28F46
	v_max3_f32 v48, v72, v73, v48                              // 00000000EE24: D1D30030 04C29348
	v_max3_f32 v48, v74, v75, v48                              // 00000000EE2C: D1D30030 04C2974A
	v_max3_f32 v48, v76, v77, v48                              // 00000000EE34: D1D30030 04C29B4C
	v_max3_f32 v48, v78, v79, v48                              // 00000000EE3C: D1D30030 04C29F4E
	buffer_load_dwordx4 a[96:99], v34, s[20:23], 0 offen       // 00000000EE44: E05C1000 80856022
	v_mov_b32_e32 v64, 0xff800000                              // 00000000EE4C: 7E8002FF FF800000
	v_cmp_eq_u32_e64 s[40:41], v64, v11                        // 00000000EE54: D0CA0028 00021740
	s_nop 1                                                    // 00000000EE5C: BF800001
	v_max_f32_e32 v15, v48, v11                                // 00000000EE60: 161E1730
	v_mul_f32_e32 v53, s64, v15                                // 00000000EE64: 0A6A1E40
	v_fma_f32 v112, v112, s64, -v53                            // 00000000EE68: D1CB0070 84D48170
	v_fma_f32 v113, v113, s64, -v53                            // 00000000EE70: D1CB0071 84D48171
	v_fma_f32 v114, v114, s64, -v53                            // 00000000EE78: D1CB0072 84D48172
	v_fma_f32 v115, v115, s64, -v53                            // 00000000EE80: D1CB0073 84D48173
	v_fma_f32 v116, v116, s64, -v53                            // 00000000EE88: D1CB0074 84D48174
	v_fma_f32 v117, v117, s64, -v53                            // 00000000EE90: D1CB0075 84D48175
	v_fma_f32 v118, v118, s64, -v53                            // 00000000EE98: D1CB0076 84D48176
	v_fma_f32 v119, v119, s64, -v53                            // 00000000EEA0: D1CB0077 84D48177
	v_fma_f32 v120, v120, s64, -v53                            // 00000000EEA8: D1CB0078 84D48178
	v_fma_f32 v121, v121, s64, -v53                            // 00000000EEB0: D1CB0079 84D48179
	v_fma_f32 v122, v122, s64, -v53                            // 00000000EEB8: D1CB007A 84D4817A
	v_fma_f32 v123, v123, s64, -v53                            // 00000000EEC0: D1CB007B 84D4817B
	v_fma_f32 v124, v124, s64, -v53                            // 00000000EEC8: D1CB007C 84D4817C
	v_fma_f32 v125, v125, s64, -v53                            // 00000000EED0: D1CB007D 84D4817D
	v_fma_f32 v126, v126, s64, -v53                            // 00000000EED8: D1CB007E 84D4817E
	v_fma_f32 v127, v127, s64, -v53                            // 00000000EEE0: D1CB007F 84D4817F
	buffer_load_dwordx4 a[100:103], v35, s[20:23], 0 offen     // 00000000EEE8: E05C1000 80856423
	v_exp_f32_e32 v112, v112                                   // 00000000EEF0: 7EE04170
	v_exp_f32_e32 v113, v113                                   // 00000000EEF4: 7EE24171
	v_exp_f32_e32 v114, v114                                   // 00000000EEF8: 7EE44172
	v_exp_f32_e32 v115, v115                                   // 00000000EEFC: 7EE64173
	v_exp_f32_e32 v116, v116                                   // 00000000EF00: 7EE84174
	v_exp_f32_e32 v117, v117                                   // 00000000EF04: 7EEA4175
	v_exp_f32_e32 v118, v118                                   // 00000000EF08: 7EEC4176
	v_exp_f32_e32 v119, v119                                   // 00000000EF0C: 7EEE4177
	v_exp_f32_e32 v120, v120                                   // 00000000EF10: 7EF04178
	v_exp_f32_e32 v121, v121                                   // 00000000EF14: 7EF24179
	v_exp_f32_e32 v122, v122                                   // 00000000EF18: 7EF4417A
	v_exp_f32_e32 v123, v123                                   // 00000000EF1C: 7EF6417B
	v_exp_f32_e32 v124, v124                                   // 00000000EF20: 7EF8417C
	v_exp_f32_e32 v125, v125                                   // 00000000EF24: 7EFA417D
	v_exp_f32_e32 v126, v126                                   // 00000000EF28: 7EFC417E
	v_exp_f32_e32 v127, v127                                   // 00000000EF2C: 7EFE417F
	buffer_load_dwordx4 a[104:107], v36, s[20:23], 0 offen     // 00000000EF30: E05C1000 80856824
	v_mul_f32_dpp v240, v252, v112 quad_perm:[0,0,0,0] row_mask:0xf bank_mask:0xf// 00000000EF38: 0BE0E0FA FF0000FC
	v_mul_f32_dpp v241, v252, v113 quad_perm:[1,1,1,1] row_mask:0xf bank_mask:0xf// 00000000EF40: 0BE2E2FA FF0055FC
	v_mul_f32_dpp v242, v252, v114 quad_perm:[2,2,2,2] row_mask:0xf bank_mask:0xf// 00000000EF48: 0BE4E4FA FF00AAFC
	v_mul_f32_dpp v243, v252, v115 quad_perm:[3,3,3,3] row_mask:0xf bank_mask:0xf// 00000000EF50: 0BE6E6FA FF00FFFC
	v_mul_f32_dpp v244, v253, v116 quad_perm:[0,0,0,0] row_mask:0xf bank_mask:0xf// 00000000EF58: 0BE8E8FA FF0000FD
	v_mul_f32_dpp v245, v253, v117 quad_perm:[1,1,1,1] row_mask:0xf bank_mask:0xf// 00000000EF60: 0BEAEAFA FF0055FD
	v_mul_f32_dpp v246, v253, v118 quad_perm:[2,2,2,2] row_mask:0xf bank_mask:0xf// 00000000EF68: 0BECECFA FF00AAFD
	v_mul_f32_dpp v247, v253, v119 quad_perm:[3,3,3,3] row_mask:0xf bank_mask:0xf// 00000000EF70: 0BEEEEFA FF00FFFD
	v_mul_f32_dpp v248, v254, v120 quad_perm:[0,0,0,0] row_mask:0xf bank_mask:0xf// 00000000EF78: 0BF0F0FA FF0000FE
	v_mul_f32_dpp v249, v254, v121 quad_perm:[1,1,1,1] row_mask:0xf bank_mask:0xf// 00000000EF80: 0BF2F2FA FF0055FE
	v_mul_f32_dpp v250, v254, v122 quad_perm:[2,2,2,2] row_mask:0xf bank_mask:0xf// 00000000EF88: 0BF4F4FA FF00AAFE
	v_mul_f32_dpp v251, v254, v123 quad_perm:[3,3,3,3] row_mask:0xf bank_mask:0xf// 00000000EF90: 0BF6F6FA FF00FFFE
	v_mul_f32_dpp v252, v255, v124 quad_perm:[0,0,0,0] row_mask:0xf bank_mask:0xf// 00000000EF98: 0BF8F8FA FF0000FF
	v_mul_f32_dpp v253, v255, v125 quad_perm:[1,1,1,1] row_mask:0xf bank_mask:0xf// 00000000EFA0: 0BFAFAFA FF0055FF
	v_mul_f32_dpp v254, v255, v126 quad_perm:[2,2,2,2] row_mask:0xf bank_mask:0xf// 00000000EFA8: 0BFCFCFA FF00AAFF
	v_mul_f32_dpp v255, v255, v127 quad_perm:[3,3,3,3] row_mask:0xf bank_mask:0xf// 00000000EFB0: 0BFEFEFA FF00FFFF
	v_mov_b32_e32 v48, 0x358637bd                              // 00000000EFB8: 7E6002FF 358637BD
	v_max3_f32 v48, |v240|, |v241|, v48                        // 00000000EFC0: D1D30330 04C3E3F0
	v_max3_f32 v48, |v242|, |v243|, v48                        // 00000000EFC8: D1D30330 04C3E7F2
	v_max3_f32 v48, |v244|, |v245|, v48                        // 00000000EFD0: D1D30330 04C3EBF4
	v_max3_f32 v48, |v246|, |v247|, v48                        // 00000000EFD8: D1D30330 04C3EFF6
	v_max3_f32 v48, |v248|, |v249|, v48                        // 00000000EFE0: D1D30330 04C3F3F8
	v_max3_f32 v48, |v250|, |v251|, v48                        // 00000000EFE8: D1D30330 04C3F7FA
	v_max3_f32 v48, |v252|, |v253|, v48                        // 00000000EFF0: D1D30330 04C3FBFC
	v_max3_f32 v48, |v254|, |v255|, v48                        // 00000000EFF8: D1D30330 04C3FFFE
	buffer_load_dwordx4 a[108:111], v37, s[20:23], 0 offen     // 00000000F000: E05C1000 80856C25
	ds_write_b32 v8, v48 offset:20992                          // 00000000F008: D81A5200 00003008
	v_sub_f32_e32 v49, v11, v15                                // 00000000F010: 04621F0B
	v_cndmask_b32_e64 v49, v49, 0, s[40:41]                    // 00000000F014: D1000031 00A10131
	v_mov_b32_e32 v11, v15                                     // 00000000F01C: 7E16030F
	v_mul_f32_e32 v49, s64, v49                                // 00000000F020: 0A626240
	v_exp_f32_e32 v49, v49                                     // 00000000F024: 7E624131
	s_waitcnt lgkmcnt(0)                                       // 00000000F028: BF8CC07F
	s_barrier                                                  // 00000000F02C: BF8A0000
	ds_read_b32 v64, v7 offset:20992                           // 00000000F030: D86C5200 40000007
	ds_read_b32 v65, v7 offset:21056                           // 00000000F038: D86C5240 41000007
	ds_read_b32 v66, v7 offset:21120                           // 00000000F040: D86C5280 42000007
	ds_read_b32 v67, v7 offset:21184                           // 00000000F048: D86C52C0 43000007
	ds_read_b32 v68, v7 offset:21248                           // 00000000F050: D86C5300 44000007
	ds_read_b32 v69, v7 offset:21312                           // 00000000F058: D86C5340 45000007
	ds_read_b32 v70, v7 offset:21376                           // 00000000F060: D86C5380 46000007
	ds_read_b32 v71, v7 offset:21440                           // 00000000F068: D86C53C0 47000007
	ds_read_b32 v72, v7 offset:21504                           // 00000000F070: D86C5400 48000007
	ds_read_b32 v73, v7 offset:21568                           // 00000000F078: D86C5440 49000007
	ds_read_b32 v74, v7 offset:21632                           // 00000000F080: D86C5480 4A000007
	ds_read_b32 v75, v7 offset:21696                           // 00000000F088: D86C54C0 4B000007
	ds_read_b32 v76, v7 offset:21760                           // 00000000F090: D86C5500 4C000007
	ds_read_b32 v77, v7 offset:21824                           // 00000000F098: D86C5540 4D000007
	ds_read_b32 v78, v7 offset:21888                           // 00000000F0A0: D86C5580 4E000007
	ds_read_b32 v79, v7 offset:21952                           // 00000000F0A8: D86C55C0 4F000007
	v_mul_f32_e32 v38, v49, v38                                // 00000000F0B0: 0A4C4D31
	v_mov_b32_e32 v15, v112                                    // 00000000F0B4: 7E1E0370
	v_add_f32_e32 v15, v113, v15                               // 00000000F0B8: 021E1F71
	v_add_f32_e32 v15, v114, v15                               // 00000000F0BC: 021E1F72
	v_add_f32_e32 v15, v115, v15                               // 00000000F0C0: 021E1F73
	v_add_f32_e32 v15, v116, v15                               // 00000000F0C4: 021E1F74
	v_add_f32_e32 v15, v117, v15                               // 00000000F0C8: 021E1F75
	v_add_f32_e32 v15, v118, v15                               // 00000000F0CC: 021E1F76
	v_add_f32_e32 v15, v119, v15                               // 00000000F0D0: 021E1F77
	v_add_f32_e32 v15, v120, v15                               // 00000000F0D4: 021E1F78
	v_add_f32_e32 v15, v121, v15                               // 00000000F0D8: 021E1F79
	v_add_f32_e32 v15, v122, v15                               // 00000000F0DC: 021E1F7A
	v_add_f32_e32 v15, v123, v15                               // 00000000F0E0: 021E1F7B
	v_add_f32_e32 v15, v124, v15                               // 00000000F0E4: 021E1F7C
	v_add_f32_e32 v15, v125, v15                               // 00000000F0E8: 021E1F7D
	v_add_f32_e32 v15, v126, v15                               // 00000000F0EC: 021E1F7E
	v_add_f32_e32 v15, v127, v15                               // 00000000F0F0: 021E1F7F
	v_add_f32_e32 v38, v15, v38                                // 00000000F0F4: 024C4D0F
	s_waitcnt lgkmcnt(0)                                       // 00000000F0F8: BF8CC07F
	v_max3_f32 v48, |v64|, |v65|, v48                          // 00000000F0FC: D1D30330 04C28340
	v_max3_f32 v48, |v66|, |v67|, v48                          // 00000000F104: D1D30330 04C28742
	v_max3_f32 v48, |v68|, |v69|, v48                          // 00000000F10C: D1D30330 04C28B44
	v_max3_f32 v48, |v70|, |v71|, v48                          // 00000000F114: D1D30330 04C28F46
	v_max3_f32 v48, |v72|, |v73|, v48                          // 00000000F11C: D1D30330 04C29348
	v_max3_f32 v48, |v74|, |v75|, v48                          // 00000000F124: D1D30330 04C2974A
	v_max3_f32 v48, |v76|, |v77|, v48                          // 00000000F12C: D1D30330 04C29B4C
	v_max3_f32 v48, |v78|, |v79|, v48                          // 00000000F134: D1D30330 04C29F4E
	s_nop 2                                                    // 00000000F13C: BF800002
	v_rcp_f32_e32 v48, v48                                     // 00000000F140: 7E604530
	s_nop 1                                                    // 00000000F144: BF800001
	v_mul_f32_e32 v48, 0x43e00000, v48                         // 00000000F148: 0A6060FF 43E00000
	v_mul_f32_e32 v112, v48, v240                              // 00000000F150: 0AE1E130
	v_mul_f32_e32 v113, v48, v241                              // 00000000F154: 0AE3E330
	v_mul_f32_e32 v114, v48, v242                              // 00000000F158: 0AE5E530
	v_mul_f32_e32 v115, v48, v243                              // 00000000F15C: 0AE7E730
	v_mul_f32_e32 v116, v48, v244                              // 00000000F160: 0AE9E930
	v_mul_f32_e32 v117, v48, v245                              // 00000000F164: 0AEBEB30
	v_mul_f32_e32 v118, v48, v246                              // 00000000F168: 0AEDED30
	v_mul_f32_e32 v119, v48, v247                              // 00000000F16C: 0AEFEF30
	v_mul_f32_e32 v120, v48, v248                              // 00000000F170: 0AF1F130
	v_mul_f32_e32 v121, v48, v249                              // 00000000F174: 0AF3F330
	v_mul_f32_e32 v122, v48, v250                              // 00000000F178: 0AF5F530
	v_mul_f32_e32 v123, v48, v251                              // 00000000F17C: 0AF7F730
	v_mul_f32_e32 v124, v48, v252                              // 00000000F180: 0AF9F930
	v_mul_f32_e32 v125, v48, v253                              // 00000000F184: 0AFBFB30
	v_mul_f32_e32 v126, v48, v254                              // 00000000F188: 0AFDFD30
	v_mul_f32_e32 v127, v48, v255                              // 00000000F18C: 0AFFFF30
	v_cvt_pk_fp8_f32 v112, v112, v113                          // 00000000F190: D2A20070 0002E370
	v_cvt_pk_fp8_f32 v112, v114, v115 op_sel:[0,0,1]           // 00000000F198: D2A24070 0002E772
	v_cvt_pk_fp8_f32 v113, v116, v117                          // 00000000F1A0: D2A20071 0002EB74
	v_cvt_pk_fp8_f32 v113, v118, v119 op_sel:[0,0,1]           // 00000000F1A8: D2A24071 0002EF76
	v_cvt_pk_fp8_f32 v114, v120, v121                          // 00000000F1B0: D2A20072 0002F378
	v_cvt_pk_fp8_f32 v114, v122, v123 op_sel:[0,0,1]           // 00000000F1B8: D2A24072 0002F77A
	v_cvt_pk_fp8_f32 v115, v124, v125                          // 00000000F1C0: D2A20073 0002FB7C
	v_cvt_pk_fp8_f32 v115, v126, v127 op_sel:[0,0,1]           // 00000000F1C8: D2A24073 0002FF7E
	ds_write_b32 v10, v112 offset:25088                        // 00000000F1D0: D81A6200 0000700A
	ds_write_b32 v10, v113 offset:26112                        // 00000000F1D8: D81A6600 0000710A
	ds_write_b32 v10, v114 offset:27136                        // 00000000F1E0: D81A6A00 0000720A
	ds_write_b32 v10, v115 offset:28160                        // 00000000F1E8: D81A6E00 0000730A
	v_add_f32_e32 v208, v208, v176                             // 00000000F1F0: 03A161D0
	v_add_f32_e32 v209, v209, v177                             // 00000000F1F4: 03A363D1
	v_add_f32_e32 v210, v210, v178                             // 00000000F1F8: 03A565D2
	v_add_f32_e32 v211, v211, v179                             // 00000000F1FC: 03A767D3
	v_add_f32_e32 v212, v212, v180                             // 00000000F200: 03A969D4
	v_add_f32_e32 v213, v213, v181                             // 00000000F204: 03AB6BD5
	v_add_f32_e32 v214, v214, v182                             // 00000000F208: 03AD6DD6
	v_add_f32_e32 v215, v215, v183                             // 00000000F20C: 03AF6FD7
	v_rcp_f32_e32 v44, v48                                     // 00000000F210: 7E584530
	s_waitcnt lgkmcnt(0)                                       // 00000000F214: BF8CC07F
	s_barrier                                                  // 00000000F218: BF8A0000
	ds_read_b64 v[112:113], v9 offset:25088                    // 00000000F21C: D8EC6200 70000009
	ds_read_b64 v[114:115], v9 offset:25216                    // 00000000F224: D8EC6280 72000009
	ds_read_b64 v[116:117], v9 offset:26112                    // 00000000F22C: D8EC6600 74000009
	ds_read_b64 v[118:119], v9 offset:26240                    // 00000000F234: D8EC6680 76000009
	ds_read_b64 v[120:121], v9 offset:27136                    // 00000000F23C: D8EC6A00 78000009
	ds_read_b64 v[122:123], v9 offset:27264                    // 00000000F244: D8EC6A80 7A000009
	ds_read_b64 v[124:125], v9 offset:28160                    // 00000000F24C: D8EC6E00 7C000009
	ds_read_b64 v[126:127], v9 offset:28288                    // 00000000F254: D8EC6E80 7E000009
	v_mov_b32_dpp v64, v42 row_shr:4 row_mask:0xf bank_mask:0xf// 00000000F25C: 7E8002FA FF01142A
	v_mov_b32_dpp v65, v42 row_shl:4 row_mask:0xf bank_mask:0xf// 00000000F264: 7E8202FA FF01042A
	v_cndmask_b32_e64 v248, v42, v64, s[44:45]                 // 00000000F26C: D10000F8 00B2812A
	v_cndmask_b32_e64 v249, v65, v42, s[44:45]                 // 00000000F274: D10000F9 00B25541
	v_mov_b32_dpp v64, v248 row_shr:8 row_mask:0xf bank_mask:0xf// 00000000F27C: 7E8002FA FF0118F8
	v_mov_b32_dpp v65, v248 row_shl:8 row_mask:0xf bank_mask:0xf// 00000000F284: 7E8202FA FF0108F8
	v_mov_b32_dpp v66, v249 row_shr:8 row_mask:0xf bank_mask:0xf// 00000000F28C: 7E8402FA FF0118F9
	v_mov_b32_dpp v67, v249 row_shl:8 row_mask:0xf bank_mask:0xf// 00000000F294: 7E8602FA FF0108F9
	v_mov_b32_e32 v68, v248                                    // 00000000F29C: 7E8803F8
	v_mov_b32_e32 v69, v249                                    // 00000000F2A0: 7E8A03F9
	v_cndmask_b32_e64 v248, v68, v64, s[42:43]                 // 00000000F2A4: D10000F8 00AA8144
	v_cndmask_b32_e64 v250, v68, v65, s[78:79]                 // 00000000F2AC: D10000FA 013A8344
	v_cndmask_b32_e64 v249, v69, v66, s[42:43]                 // 00000000F2B4: D10000F9 00AA8545
	v_cndmask_b32_e64 v251, v69, v67, s[78:79]                 // 00000000F2BC: D10000FB 013A8745
	v_mov_b32_dpp v64, v57 row_shr:4 row_mask:0xf bank_mask:0xf// 00000000F2C4: 7E8002FA FF011439
	v_mov_b32_dpp v65, v57 row_shl:4 row_mask:0xf bank_mask:0xf// 00000000F2CC: 7E8202FA FF010439
	v_cndmask_b32_e64 v252, v57, v64, s[44:45]                 // 00000000F2D4: D10000FC 00B28139
	v_cndmask_b32_e64 v253, v65, v57, s[44:45]                 // 00000000F2DC: D10000FD 00B27341
	v_mov_b32_dpp v64, v252 row_shr:8 row_mask:0xf bank_mask:0xf// 00000000F2E4: 7E8002FA FF0118FC
	v_mov_b32_dpp v65, v252 row_shl:8 row_mask:0xf bank_mask:0xf// 00000000F2EC: 7E8202FA FF0108FC
	v_mov_b32_dpp v66, v253 row_shr:8 row_mask:0xf bank_mask:0xf// 00000000F2F4: 7E8402FA FF0118FD
	v_mov_b32_dpp v67, v253 row_shl:8 row_mask:0xf bank_mask:0xf// 00000000F2FC: 7E8602FA FF0108FD
	v_mov_b32_e32 v68, v252                                    // 00000000F304: 7E8803FC
	v_mov_b32_e32 v69, v253                                    // 00000000F308: 7E8A03FD
	v_cndmask_b32_e64 v252, v68, v64, s[42:43]                 // 00000000F30C: D10000FC 00AA8144
	v_cndmask_b32_e64 v254, v68, v65, s[78:79]                 // 00000000F314: D10000FE 013A8344
	v_cndmask_b32_e64 v253, v69, v66, s[42:43]                 // 00000000F31C: D10000FD 00AA8545
	v_cndmask_b32_e64 v255, v69, v67, s[78:79]                 // 00000000F324: D10000FF 013A8745
	v_mul_f32_e32 v128, v19, v128                              // 00000000F32C: 0B010113
	v_mul_f32_e32 v129, v19, v129                              // 00000000F330: 0B030313
	v_mul_f32_e32 v130, v19, v130                              // 00000000F334: 0B050513
	v_mul_f32_e32 v131, v19, v131                              // 00000000F338: 0B070713
	v_mul_f32_e32 v132, v19, v132                              // 00000000F33C: 0B090913
	v_mul_f32_e32 v133, v19, v133                              // 00000000F340: 0B0B0B13
	v_mul_f32_e32 v134, v19, v134                              // 00000000F344: 0B0D0D13
	v_mul_f32_e32 v135, v19, v135                              // 00000000F348: 0B0F0F13
	v_mul_f32_e32 v136, v19, v136                              // 00000000F34C: 0B111113
	v_mul_f32_e32 v137, v19, v137                              // 00000000F350: 0B131313
	v_mul_f32_e32 v138, v19, v138                              // 00000000F354: 0B151513
	v_mul_f32_e32 v139, v19, v139                              // 00000000F358: 0B171713
	v_mul_f32_e32 v140, v19, v140                              // 00000000F35C: 0B191913
	v_mul_f32_e32 v141, v19, v141                              // 00000000F360: 0B1B1B13
	v_mul_f32_e32 v142, v19, v142                              // 00000000F364: 0B1D1D13
	v_mul_f32_e32 v143, v19, v143                              // 00000000F368: 0B1F1F13
	v_mul_f32_dpp v128, v248, v128 quad_perm:[0,0,0,0] row_mask:0xf bank_mask:0xf// 00000000F36C: 0B0100FA FF0000F8
	v_mul_f32_dpp v129, v248, v129 quad_perm:[1,1,1,1] row_mask:0xf bank_mask:0xf// 00000000F374: 0B0302FA FF0055F8
	v_mul_f32_dpp v130, v248, v130 quad_perm:[2,2,2,2] row_mask:0xf bank_mask:0xf// 00000000F37C: 0B0504FA FF00AAF8
	v_mul_f32_dpp v131, v248, v131 quad_perm:[3,3,3,3] row_mask:0xf bank_mask:0xf// 00000000F384: 0B0706FA FF00FFF8
	v_mul_f32_dpp v132, v249, v132 quad_perm:[0,0,0,0] row_mask:0xf bank_mask:0xf// 00000000F38C: 0B0908FA FF0000F9
	v_mul_f32_dpp v133, v249, v133 quad_perm:[1,1,1,1] row_mask:0xf bank_mask:0xf// 00000000F394: 0B0B0AFA FF0055F9
	v_mul_f32_dpp v134, v249, v134 quad_perm:[2,2,2,2] row_mask:0xf bank_mask:0xf// 00000000F39C: 0B0D0CFA FF00AAF9
	v_mul_f32_dpp v135, v249, v135 quad_perm:[3,3,3,3] row_mask:0xf bank_mask:0xf// 00000000F3A4: 0B0F0EFA FF00FFF9
	v_mul_f32_dpp v136, v250, v136 quad_perm:[0,0,0,0] row_mask:0xf bank_mask:0xf// 00000000F3AC: 0B1110FA FF0000FA
	v_mul_f32_dpp v137, v250, v137 quad_perm:[1,1,1,1] row_mask:0xf bank_mask:0xf// 00000000F3B4: 0B1312FA FF0055FA
	v_mul_f32_dpp v138, v250, v138 quad_perm:[2,2,2,2] row_mask:0xf bank_mask:0xf// 00000000F3BC: 0B1514FA FF00AAFA
	v_mul_f32_dpp v139, v250, v139 quad_perm:[3,3,3,3] row_mask:0xf bank_mask:0xf// 00000000F3C4: 0B1716FA FF00FFFA
	v_mul_f32_dpp v140, v251, v140 quad_perm:[0,0,0,0] row_mask:0xf bank_mask:0xf// 00000000F3CC: 0B1918FA FF0000FB
	v_mul_f32_dpp v141, v251, v141 quad_perm:[1,1,1,1] row_mask:0xf bank_mask:0xf// 00000000F3D4: 0B1B1AFA FF0055FB
	v_mul_f32_dpp v142, v251, v142 quad_perm:[2,2,2,2] row_mask:0xf bank_mask:0xf// 00000000F3DC: 0B1D1CFA FF00AAFB
	v_mul_f32_dpp v143, v251, v143 quad_perm:[3,3,3,3] row_mask:0xf bank_mask:0xf// 00000000F3E4: 0B1F1EFA FF00FFFB
	v_mov_b32_e32 v48, v128                                    // 00000000F3EC: 7E600380
	v_max3_f32 v48, v128, v129, v48                            // 00000000F3F0: D1D30030 04C30380
	v_max3_f32 v48, v130, v131, v48                            // 00000000F3F8: D1D30030 04C30782
	v_max3_f32 v48, v132, v133, v48                            // 00000000F400: D1D30030 04C30B84
	v_max3_f32 v48, v134, v135, v48                            // 00000000F408: D1D30030 04C30F86
	v_max3_f32 v48, v136, v137, v48                            // 00000000F410: D1D30030 04C31388
	v_max3_f32 v48, v138, v139, v48                            // 00000000F418: D1D30030 04C3178A
	v_max3_f32 v48, v140, v141, v48                            // 00000000F420: D1D30030 04C31B8C
	v_max3_f32 v48, v142, v143, v48                            // 00000000F428: D1D30030 04C31F8E
	ds_write_b32 v8, v48 offset:16896                          // 00000000F430: D81A4200 00003008
	v_mul_f32_e32 v216, v50, v216                              // 00000000F438: 0BB1B132
	v_mul_f32_e32 v217, v50, v217                              // 00000000F43C: 0BB3B332
	v_mul_f32_e32 v218, v50, v218                              // 00000000F440: 0BB5B532
	v_mul_f32_e32 v219, v50, v219                              // 00000000F444: 0BB7B732
	v_mul_f32_e32 v220, v50, v220                              // 00000000F448: 0BB9B932
	v_mul_f32_e32 v221, v50, v221                              // 00000000F44C: 0BBBBB32
	v_mul_f32_e32 v222, v50, v222                              // 00000000F450: 0BBDBD32
	v_mul_f32_e32 v223, v50, v223                              // 00000000F454: 0BBFBF32
	s_waitcnt lgkmcnt(0)                                       // 00000000F458: BF8CC07F
	s_barrier                                                  // 00000000F45C: BF8A0000
	ds_read_b32 v64, v7 offset:16896                           // 00000000F460: D86C4200 40000007
	ds_read_b32 v65, v7 offset:16960                           // 00000000F468: D86C4240 41000007
	ds_read_b32 v66, v7 offset:17024                           // 00000000F470: D86C4280 42000007
	ds_read_b32 v67, v7 offset:17088                           // 00000000F478: D86C42C0 43000007
	ds_read_b32 v68, v7 offset:17152                           // 00000000F480: D86C4300 44000007
	ds_read_b32 v69, v7 offset:17216                           // 00000000F488: D86C4340 45000007
	ds_read_b32 v70, v7 offset:17280                           // 00000000F490: D86C4380 46000007
	ds_read_b32 v71, v7 offset:17344                           // 00000000F498: D86C43C0 47000007
	ds_read_b32 v72, v7 offset:17408                           // 00000000F4A0: D86C4400 48000007
	ds_read_b32 v73, v7 offset:17472                           // 00000000F4A8: D86C4440 49000007
	ds_read_b32 v74, v7 offset:17536                           // 00000000F4B0: D86C4480 4A000007
	ds_read_b32 v75, v7 offset:17600                           // 00000000F4B8: D86C44C0 4B000007
	ds_read_b32 v76, v7 offset:17664                           // 00000000F4C0: D86C4500 4C000007
	ds_read_b32 v77, v7 offset:17728                           // 00000000F4C8: D86C4540 4D000007
	ds_read_b32 v78, v7 offset:17792                           // 00000000F4D0: D86C4580 4E000007
	ds_read_b32 v79, v7 offset:17856                           // 00000000F4D8: D86C45C0 4F000007
	v_mul_f32_e32 v184, v45, v184                              // 00000000F4E0: 0B71712D
	v_mul_f32_e32 v185, v45, v185                              // 00000000F4E4: 0B73732D
	v_mul_f32_e32 v186, v45, v186                              // 00000000F4E8: 0B75752D
	v_mul_f32_e32 v187, v45, v187                              // 00000000F4EC: 0B77772D
	v_mul_f32_e32 v188, v45, v188                              // 00000000F4F0: 0B79792D
	v_mul_f32_e32 v189, v45, v189                              // 00000000F4F4: 0B7B7B2D
	v_mul_f32_e32 v190, v45, v190                              // 00000000F4F8: 0B7D7D2D
	v_mul_f32_e32 v191, v45, v191                              // 00000000F4FC: 0B7F7F2D
	s_waitcnt lgkmcnt(0)                                       // 00000000F500: BF8CC07F
	v_max3_f32 v48, v64, v65, v48                              // 00000000F504: D1D30030 04C28340
	v_max3_f32 v48, v66, v67, v48                              // 00000000F50C: D1D30030 04C28742
	v_max3_f32 v48, v68, v69, v48                              // 00000000F514: D1D30030 04C28B44
	v_max3_f32 v48, v70, v71, v48                              // 00000000F51C: D1D30030 04C28F46
	v_max3_f32 v48, v72, v73, v48                              // 00000000F524: D1D30030 04C29348
	v_max3_f32 v48, v74, v75, v48                              // 00000000F52C: D1D30030 04C2974A
	v_max3_f32 v48, v76, v77, v48                              // 00000000F534: D1D30030 04C29B4C
	v_max3_f32 v48, v78, v79, v48                              // 00000000F53C: D1D30030 04C29F4E
	v_mov_b32_e32 v64, 0xff800000                              // 00000000F544: 7E8002FF FF800000
	v_cmp_eq_u32_e64 s[40:41], v64, v12                        // 00000000F54C: D0CA0028 00021940
	s_nop 1                                                    // 00000000F554: BF800001
	v_max_f32_e32 v15, v48, v12                                // 00000000F558: 161E1930
	v_mul_f32_e32 v53, s64, v15                                // 00000000F55C: 0A6A1E40
	v_fma_f32 v128, v128, s64, -v53                            // 00000000F560: D1CB0080 84D48180
	v_fma_f32 v129, v129, s64, -v53                            // 00000000F568: D1CB0081 84D48181
	v_fma_f32 v130, v130, s64, -v53                            // 00000000F570: D1CB0082 84D48182
	v_fma_f32 v131, v131, s64, -v53                            // 00000000F578: D1CB0083 84D48183
	v_fma_f32 v132, v132, s64, -v53                            // 00000000F580: D1CB0084 84D48184
	v_fma_f32 v133, v133, s64, -v53                            // 00000000F588: D1CB0085 84D48185
	v_fma_f32 v134, v134, s64, -v53                            // 00000000F590: D1CB0086 84D48186
	v_fma_f32 v135, v135, s64, -v53                            // 00000000F598: D1CB0087 84D48187
	v_fma_f32 v136, v136, s64, -v53                            // 00000000F5A0: D1CB0088 84D48188
	v_fma_f32 v137, v137, s64, -v53                            // 00000000F5A8: D1CB0089 84D48189
	v_fma_f32 v138, v138, s64, -v53                            // 00000000F5B0: D1CB008A 84D4818A
	v_fma_f32 v139, v139, s64, -v53                            // 00000000F5B8: D1CB008B 84D4818B
	v_fma_f32 v140, v140, s64, -v53                            // 00000000F5C0: D1CB008C 84D4818C
	v_fma_f32 v141, v141, s64, -v53                            // 00000000F5C8: D1CB008D 84D4818D
	v_fma_f32 v142, v142, s64, -v53                            // 00000000F5D0: D1CB008E 84D4818E
	v_fma_f32 v143, v143, s64, -v53                            // 00000000F5D8: D1CB008F 84D4818F
	v_exp_f32_e32 v128, v128                                   // 00000000F5E0: 7F004180
	v_exp_f32_e32 v129, v129                                   // 00000000F5E4: 7F024181
	v_exp_f32_e32 v130, v130                                   // 00000000F5E8: 7F044182
	v_exp_f32_e32 v131, v131                                   // 00000000F5EC: 7F064183
	v_exp_f32_e32 v132, v132                                   // 00000000F5F0: 7F084184
	v_exp_f32_e32 v133, v133                                   // 00000000F5F4: 7F0A4185
	v_exp_f32_e32 v134, v134                                   // 00000000F5F8: 7F0C4186
	v_exp_f32_e32 v135, v135                                   // 00000000F5FC: 7F0E4187
	v_exp_f32_e32 v136, v136                                   // 00000000F600: 7F104188
	v_exp_f32_e32 v137, v137                                   // 00000000F604: 7F124189
	v_exp_f32_e32 v138, v138                                   // 00000000F608: 7F14418A
	v_exp_f32_e32 v139, v139                                   // 00000000F60C: 7F16418B
	v_exp_f32_e32 v140, v140                                   // 00000000F610: 7F18418C
	v_exp_f32_e32 v141, v141                                   // 00000000F614: 7F1A418D
	v_exp_f32_e32 v142, v142                                   // 00000000F618: 7F1C418E
	v_exp_f32_e32 v143, v143                                   // 00000000F61C: 7F1E418F
	v_mul_f32_dpp v240, v252, v128 quad_perm:[0,0,0,0] row_mask:0xf bank_mask:0xf// 00000000F620: 0BE100FA FF0000FC
	v_mul_f32_dpp v241, v252, v129 quad_perm:[1,1,1,1] row_mask:0xf bank_mask:0xf// 00000000F628: 0BE302FA FF0055FC
	v_mul_f32_dpp v242, v252, v130 quad_perm:[2,2,2,2] row_mask:0xf bank_mask:0xf// 00000000F630: 0BE504FA FF00AAFC
	v_mul_f32_dpp v243, v252, v131 quad_perm:[3,3,3,3] row_mask:0xf bank_mask:0xf// 00000000F638: 0BE706FA FF00FFFC
	v_mul_f32_dpp v244, v253, v132 quad_perm:[0,0,0,0] row_mask:0xf bank_mask:0xf// 00000000F640: 0BE908FA FF0000FD
	v_mul_f32_dpp v245, v253, v133 quad_perm:[1,1,1,1] row_mask:0xf bank_mask:0xf// 00000000F648: 0BEB0AFA FF0055FD
	v_mul_f32_dpp v246, v253, v134 quad_perm:[2,2,2,2] row_mask:0xf bank_mask:0xf// 00000000F650: 0BED0CFA FF00AAFD
	v_mul_f32_dpp v247, v253, v135 quad_perm:[3,3,3,3] row_mask:0xf bank_mask:0xf// 00000000F658: 0BEF0EFA FF00FFFD
	v_mul_f32_dpp v248, v254, v136 quad_perm:[0,0,0,0] row_mask:0xf bank_mask:0xf// 00000000F660: 0BF110FA FF0000FE
	v_mul_f32_dpp v249, v254, v137 quad_perm:[1,1,1,1] row_mask:0xf bank_mask:0xf// 00000000F668: 0BF312FA FF0055FE
	v_mul_f32_dpp v250, v254, v138 quad_perm:[2,2,2,2] row_mask:0xf bank_mask:0xf// 00000000F670: 0BF514FA FF00AAFE
	v_mul_f32_dpp v251, v254, v139 quad_perm:[3,3,3,3] row_mask:0xf bank_mask:0xf// 00000000F678: 0BF716FA FF00FFFE
	v_mul_f32_dpp v252, v255, v140 quad_perm:[0,0,0,0] row_mask:0xf bank_mask:0xf// 00000000F680: 0BF918FA FF0000FF
	v_mul_f32_dpp v253, v255, v141 quad_perm:[1,1,1,1] row_mask:0xf bank_mask:0xf// 00000000F688: 0BFB1AFA FF0055FF
	v_mul_f32_dpp v254, v255, v142 quad_perm:[2,2,2,2] row_mask:0xf bank_mask:0xf// 00000000F690: 0BFD1CFA FF00AAFF
	v_mul_f32_dpp v255, v255, v143 quad_perm:[3,3,3,3] row_mask:0xf bank_mask:0xf// 00000000F698: 0BFF1EFA FF00FFFF
	v_mov_b32_e32 v48, 0x358637bd                              // 00000000F6A0: 7E6002FF 358637BD
	v_max3_f32 v48, |v240|, |v241|, v48                        // 00000000F6A8: D1D30330 04C3E3F0
	v_max3_f32 v48, |v242|, |v243|, v48                        // 00000000F6B0: D1D30330 04C3E7F2
	v_max3_f32 v48, |v244|, |v245|, v48                        // 00000000F6B8: D1D30330 04C3EBF4
	v_max3_f32 v48, |v246|, |v247|, v48                        // 00000000F6C0: D1D30330 04C3EFF6
	v_max3_f32 v48, |v248|, |v249|, v48                        // 00000000F6C8: D1D30330 04C3F3F8
	v_max3_f32 v48, |v250|, |v251|, v48                        // 00000000F6D0: D1D30330 04C3F7FA
	v_max3_f32 v48, |v252|, |v253|, v48                        // 00000000F6D8: D1D30330 04C3FBFC
	v_max3_f32 v48, |v254|, |v255|, v48                        // 00000000F6E0: D1D30330 04C3FFFE
	ds_write_b32 v8, v48 offset:20992                          // 00000000F6E8: D81A5200 00003008
	v_sub_f32_e32 v50, v12, v15                                // 00000000F6F0: 04641F0C
	v_cndmask_b32_e64 v50, v50, 0, s[40:41]                    // 00000000F6F4: D1000032 00A10132
	v_mov_b32_e32 v12, v15                                     // 00000000F6FC: 7E18030F
	v_mul_f32_e32 v50, s64, v50                                // 00000000F700: 0A646440
	v_exp_f32_e32 v50, v50                                     // 00000000F704: 7E644132
	s_waitcnt lgkmcnt(0)                                       // 00000000F708: BF8CC07F
	s_barrier                                                  // 00000000F70C: BF8A0000
	ds_read_b32 v64, v7 offset:20992                           // 00000000F710: D86C5200 40000007
	ds_read_b32 v65, v7 offset:21056                           // 00000000F718: D86C5240 41000007
	ds_read_b32 v66, v7 offset:21120                           // 00000000F720: D86C5280 42000007
	ds_read_b32 v67, v7 offset:21184                           // 00000000F728: D86C52C0 43000007
	ds_read_b32 v68, v7 offset:21248                           // 00000000F730: D86C5300 44000007
	ds_read_b32 v69, v7 offset:21312                           // 00000000F738: D86C5340 45000007
	ds_read_b32 v70, v7 offset:21376                           // 00000000F740: D86C5380 46000007
	ds_read_b32 v71, v7 offset:21440                           // 00000000F748: D86C53C0 47000007
	ds_read_b32 v72, v7 offset:21504                           // 00000000F750: D86C5400 48000007
	ds_read_b32 v73, v7 offset:21568                           // 00000000F758: D86C5440 49000007
	ds_read_b32 v74, v7 offset:21632                           // 00000000F760: D86C5480 4A000007
	ds_read_b32 v75, v7 offset:21696                           // 00000000F768: D86C54C0 4B000007
	ds_read_b32 v76, v7 offset:21760                           // 00000000F770: D86C5500 4C000007
	ds_read_b32 v77, v7 offset:21824                           // 00000000F778: D86C5540 4D000007
	ds_read_b32 v78, v7 offset:21888                           // 00000000F780: D86C5580 4E000007
	ds_read_b32 v79, v7 offset:21952                           // 00000000F788: D86C55C0 4F000007
	v_mul_f32_e32 v39, v50, v39                                // 00000000F790: 0A4E4F32
	v_mov_b32_e32 v15, v128                                    // 00000000F794: 7E1E0380
	v_add_f32_e32 v15, v129, v15                               // 00000000F798: 021E1F81
	v_add_f32_e32 v15, v130, v15                               // 00000000F79C: 021E1F82
	v_add_f32_e32 v15, v131, v15                               // 00000000F7A0: 021E1F83
	v_add_f32_e32 v15, v132, v15                               // 00000000F7A4: 021E1F84
	v_add_f32_e32 v15, v133, v15                               // 00000000F7A8: 021E1F85
	v_add_f32_e32 v15, v134, v15                               // 00000000F7AC: 021E1F86
	v_add_f32_e32 v15, v135, v15                               // 00000000F7B0: 021E1F87
	v_add_f32_e32 v15, v136, v15                               // 00000000F7B4: 021E1F88
	v_add_f32_e32 v15, v137, v15                               // 00000000F7B8: 021E1F89
	v_add_f32_e32 v15, v138, v15                               // 00000000F7BC: 021E1F8A
	v_add_f32_e32 v15, v139, v15                               // 00000000F7C0: 021E1F8B
	v_add_f32_e32 v15, v140, v15                               // 00000000F7C4: 021E1F8C
	v_add_f32_e32 v15, v141, v15                               // 00000000F7C8: 021E1F8D
	v_add_f32_e32 v15, v142, v15                               // 00000000F7CC: 021E1F8E
	v_add_f32_e32 v15, v143, v15                               // 00000000F7D0: 021E1F8F
	v_add_f32_e32 v39, v15, v39                                // 00000000F7D4: 024E4F0F
	s_waitcnt lgkmcnt(0)                                       // 00000000F7D8: BF8CC07F
	v_max3_f32 v48, |v64|, |v65|, v48                          // 00000000F7DC: D1D30330 04C28340
	v_max3_f32 v48, |v66|, |v67|, v48                          // 00000000F7E4: D1D30330 04C28742
	v_max3_f32 v48, |v68|, |v69|, v48                          // 00000000F7EC: D1D30330 04C28B44
	v_max3_f32 v48, |v70|, |v71|, v48                          // 00000000F7F4: D1D30330 04C28F46
	v_max3_f32 v48, |v72|, |v73|, v48                          // 00000000F7FC: D1D30330 04C29348
	v_max3_f32 v48, |v74|, |v75|, v48                          // 00000000F804: D1D30330 04C2974A
	v_max3_f32 v48, |v76|, |v77|, v48                          // 00000000F80C: D1D30330 04C29B4C
	v_max3_f32 v48, |v78|, |v79|, v48                          // 00000000F814: D1D30330 04C29F4E
	s_nop 2                                                    // 00000000F81C: BF800002
	v_rcp_f32_e32 v48, v48                                     // 00000000F820: 7E604530
	s_nop 1                                                    // 00000000F824: BF800001
	v_mul_f32_e32 v48, 0x43e00000, v48                         // 00000000F828: 0A6060FF 43E00000
	v_mul_f32_e32 v128, v48, v240                              // 00000000F830: 0B01E130
	v_mul_f32_e32 v129, v48, v241                              // 00000000F834: 0B03E330
	v_mul_f32_e32 v130, v48, v242                              // 00000000F838: 0B05E530
	v_mul_f32_e32 v131, v48, v243                              // 00000000F83C: 0B07E730
	v_mul_f32_e32 v132, v48, v244                              // 00000000F840: 0B09E930
	v_mul_f32_e32 v133, v48, v245                              // 00000000F844: 0B0BEB30
	v_mul_f32_e32 v134, v48, v246                              // 00000000F848: 0B0DED30
	v_mul_f32_e32 v135, v48, v247                              // 00000000F84C: 0B0FEF30
	v_mul_f32_e32 v136, v48, v248                              // 00000000F850: 0B11F130
	v_mul_f32_e32 v137, v48, v249                              // 00000000F854: 0B13F330
	v_mul_f32_e32 v138, v48, v250                              // 00000000F858: 0B15F530
	v_mul_f32_e32 v139, v48, v251                              // 00000000F85C: 0B17F730
	v_mul_f32_e32 v140, v48, v252                              // 00000000F860: 0B19F930
	v_mul_f32_e32 v141, v48, v253                              // 00000000F864: 0B1BFB30
	v_mul_f32_e32 v142, v48, v254                              // 00000000F868: 0B1DFD30
	v_mul_f32_e32 v143, v48, v255                              // 00000000F86C: 0B1FFF30
	v_cvt_pk_fp8_f32 v128, v128, v129                          // 00000000F870: D2A20080 00030380
	v_cvt_pk_fp8_f32 v128, v130, v131 op_sel:[0,0,1]           // 00000000F878: D2A24080 00030782
	v_cvt_pk_fp8_f32 v129, v132, v133                          // 00000000F880: D2A20081 00030B84
	v_cvt_pk_fp8_f32 v129, v134, v135 op_sel:[0,0,1]           // 00000000F888: D2A24081 00030F86
	v_cvt_pk_fp8_f32 v130, v136, v137                          // 00000000F890: D2A20082 00031388
	v_cvt_pk_fp8_f32 v130, v138, v139 op_sel:[0,0,1]           // 00000000F898: D2A24082 0003178A
	v_cvt_pk_fp8_f32 v131, v140, v141                          // 00000000F8A0: D2A20083 00031B8C
	v_cvt_pk_fp8_f32 v131, v142, v143 op_sel:[0,0,1]           // 00000000F8A8: D2A24083 00031F8E
	ds_write_b32 v10, v128 offset:29184                        // 00000000F8B0: D81A7200 0000800A
	ds_write_b32 v10, v129 offset:30208                        // 00000000F8B8: D81A7600 0000810A
	ds_write_b32 v10, v130 offset:31232                        // 00000000F8C0: D81A7A00 0000820A
	ds_write_b32 v10, v131 offset:32256                        // 00000000F8C8: D81A7E00 0000830A
	v_add_f32_e32 v216, v216, v184                             // 00000000F8D0: 03B171D8
	v_add_f32_e32 v217, v217, v185                             // 00000000F8D4: 03B373D9
	v_add_f32_e32 v218, v218, v186                             // 00000000F8D8: 03B575DA
	v_add_f32_e32 v219, v219, v187                             // 00000000F8DC: 03B777DB
	v_add_f32_e32 v220, v220, v188                             // 00000000F8E0: 03B979DC
	v_add_f32_e32 v221, v221, v189                             // 00000000F8E4: 03BB7BDD
	v_add_f32_e32 v222, v222, v190                             // 00000000F8E8: 03BD7DDE
	v_add_f32_e32 v223, v223, v191                             // 00000000F8EC: 03BF7FDF
	v_rcp_f32_e32 v45, v48                                     // 00000000F8F0: 7E5A4530
	s_waitcnt lgkmcnt(0)                                       // 00000000F8F4: BF8CC07F
	s_barrier                                                  // 00000000F8F8: BF8A0000
	ds_read_b64 v[128:129], v9 offset:29184                    // 00000000F8FC: D8EC7200 80000009
	ds_read_b64 v[130:131], v9 offset:29312                    // 00000000F904: D8EC7280 82000009
	ds_read_b64 v[132:133], v9 offset:30208                    // 00000000F90C: D8EC7600 84000009
	ds_read_b64 v[134:135], v9 offset:30336                    // 00000000F914: D8EC7680 86000009
	ds_read_b64 v[136:137], v9 offset:31232                    // 00000000F91C: D8EC7A00 88000009
	ds_read_b64 v[138:139], v9 offset:31360                    // 00000000F924: D8EC7A80 8A000009
	ds_read_b64 v[140:141], v9 offset:32256                    // 00000000F92C: D8EC7E00 8C000009
	ds_read_b64 v[142:143], v9 offset:32384                    // 00000000F934: D8EC7E80 8E000009
	v_mov_b32_dpp v64, v42 row_shr:4 row_mask:0xf bank_mask:0xf// 00000000F93C: 7E8002FA FF01142A
	v_mov_b32_dpp v65, v42 row_shl:4 row_mask:0xf bank_mask:0xf// 00000000F944: 7E8202FA FF01042A
	v_cndmask_b32_e64 v248, v42, v64, s[44:45]                 // 00000000F94C: D10000F8 00B2812A
	v_cndmask_b32_e64 v249, v65, v42, s[44:45]                 // 00000000F954: D10000F9 00B25541
	v_mov_b32_dpp v64, v248 row_shr:8 row_mask:0xf bank_mask:0xf// 00000000F95C: 7E8002FA FF0118F8
	v_mov_b32_dpp v65, v248 row_shl:8 row_mask:0xf bank_mask:0xf// 00000000F964: 7E8202FA FF0108F8
	v_mov_b32_dpp v66, v249 row_shr:8 row_mask:0xf bank_mask:0xf// 00000000F96C: 7E8402FA FF0118F9
	v_mov_b32_dpp v67, v249 row_shl:8 row_mask:0xf bank_mask:0xf// 00000000F974: 7E8602FA FF0108F9
	v_mov_b32_e32 v68, v248                                    // 00000000F97C: 7E8803F8
	v_mov_b32_e32 v69, v249                                    // 00000000F980: 7E8A03F9
	v_cndmask_b32_e64 v248, v68, v64, s[42:43]                 // 00000000F984: D10000F8 00AA8144
	v_cndmask_b32_e64 v250, v68, v65, s[78:79]                 // 00000000F98C: D10000FA 013A8344
	v_cndmask_b32_e64 v249, v69, v66, s[42:43]                 // 00000000F994: D10000F9 00AA8545
	v_cndmask_b32_e64 v251, v69, v67, s[78:79]                 // 00000000F99C: D10000FB 013A8745
	v_mov_b32_dpp v64, v57 row_shr:4 row_mask:0xf bank_mask:0xf// 00000000F9A4: 7E8002FA FF011439
	v_mov_b32_dpp v65, v57 row_shl:4 row_mask:0xf bank_mask:0xf// 00000000F9AC: 7E8202FA FF010439
	v_cndmask_b32_e64 v252, v57, v64, s[44:45]                 // 00000000F9B4: D10000FC 00B28139
	v_cndmask_b32_e64 v253, v65, v57, s[44:45]                 // 00000000F9BC: D10000FD 00B27341
	v_mov_b32_dpp v64, v252 row_shr:8 row_mask:0xf bank_mask:0xf// 00000000F9C4: 7E8002FA FF0118FC
	v_mov_b32_dpp v65, v252 row_shl:8 row_mask:0xf bank_mask:0xf// 00000000F9CC: 7E8202FA FF0108FC
	v_mov_b32_dpp v66, v253 row_shr:8 row_mask:0xf bank_mask:0xf// 00000000F9D4: 7E8402FA FF0118FD
	v_mov_b32_dpp v67, v253 row_shl:8 row_mask:0xf bank_mask:0xf// 00000000F9DC: 7E8602FA FF0108FD
	v_mov_b32_e32 v68, v252                                    // 00000000F9E4: 7E8803FC
	v_mov_b32_e32 v69, v253                                    // 00000000F9E8: 7E8A03FD
	v_cndmask_b32_e64 v252, v68, v64, s[42:43]                 // 00000000F9EC: D10000FC 00AA8144
	v_cndmask_b32_e64 v254, v68, v65, s[78:79]                 // 00000000F9F4: D10000FE 013A8344
	v_cndmask_b32_e64 v253, v69, v66, s[42:43]                 // 00000000F9FC: D10000FD 00AA8545
	v_cndmask_b32_e64 v255, v69, v67, s[78:79]                 // 00000000FA04: D10000FF 013A8745
	v_mul_f32_e32 v144, v20, v144                              // 00000000FA0C: 0B212114
	v_mul_f32_e32 v145, v20, v145                              // 00000000FA10: 0B232314
	v_mul_f32_e32 v146, v20, v146                              // 00000000FA14: 0B252514
	v_mul_f32_e32 v147, v20, v147                              // 00000000FA18: 0B272714
	v_mul_f32_e32 v148, v20, v148                              // 00000000FA1C: 0B292914
	v_mul_f32_e32 v149, v20, v149                              // 00000000FA20: 0B2B2B14
	v_mul_f32_e32 v150, v20, v150                              // 00000000FA24: 0B2D2D14
	v_mul_f32_e32 v151, v20, v151                              // 00000000FA28: 0B2F2F14
	v_mul_f32_e32 v152, v20, v152                              // 00000000FA2C: 0B313114
	v_mul_f32_e32 v153, v20, v153                              // 00000000FA30: 0B333314
	v_mul_f32_e32 v154, v20, v154                              // 00000000FA34: 0B353514
	v_mul_f32_e32 v155, v20, v155                              // 00000000FA38: 0B373714
	v_mul_f32_e32 v156, v20, v156                              // 00000000FA3C: 0B393914
	v_mul_f32_e32 v157, v20, v157                              // 00000000FA40: 0B3B3B14
	v_mul_f32_e32 v158, v20, v158                              // 00000000FA44: 0B3D3D14
	v_mul_f32_e32 v159, v20, v159                              // 00000000FA48: 0B3F3F14
	v_mul_f32_dpp v144, v248, v144 quad_perm:[0,0,0,0] row_mask:0xf bank_mask:0xf// 00000000FA4C: 0B2120FA FF0000F8
	v_mul_f32_dpp v145, v248, v145 quad_perm:[1,1,1,1] row_mask:0xf bank_mask:0xf// 00000000FA54: 0B2322FA FF0055F8
	v_mul_f32_dpp v146, v248, v146 quad_perm:[2,2,2,2] row_mask:0xf bank_mask:0xf// 00000000FA5C: 0B2524FA FF00AAF8
	v_mul_f32_dpp v147, v248, v147 quad_perm:[3,3,3,3] row_mask:0xf bank_mask:0xf// 00000000FA64: 0B2726FA FF00FFF8
	v_mul_f32_dpp v148, v249, v148 quad_perm:[0,0,0,0] row_mask:0xf bank_mask:0xf// 00000000FA6C: 0B2928FA FF0000F9
	v_mul_f32_dpp v149, v249, v149 quad_perm:[1,1,1,1] row_mask:0xf bank_mask:0xf// 00000000FA74: 0B2B2AFA FF0055F9
	v_mul_f32_dpp v150, v249, v150 quad_perm:[2,2,2,2] row_mask:0xf bank_mask:0xf// 00000000FA7C: 0B2D2CFA FF00AAF9
	v_mul_f32_dpp v151, v249, v151 quad_perm:[3,3,3,3] row_mask:0xf bank_mask:0xf// 00000000FA84: 0B2F2EFA FF00FFF9
	v_mul_f32_dpp v152, v250, v152 quad_perm:[0,0,0,0] row_mask:0xf bank_mask:0xf// 00000000FA8C: 0B3130FA FF0000FA
	v_mul_f32_dpp v153, v250, v153 quad_perm:[1,1,1,1] row_mask:0xf bank_mask:0xf// 00000000FA94: 0B3332FA FF0055FA
	v_mul_f32_dpp v154, v250, v154 quad_perm:[2,2,2,2] row_mask:0xf bank_mask:0xf// 00000000FA9C: 0B3534FA FF00AAFA
	v_mul_f32_dpp v155, v250, v155 quad_perm:[3,3,3,3] row_mask:0xf bank_mask:0xf// 00000000FAA4: 0B3736FA FF00FFFA
	v_mul_f32_dpp v156, v251, v156 quad_perm:[0,0,0,0] row_mask:0xf bank_mask:0xf// 00000000FAAC: 0B3938FA FF0000FB
	v_mul_f32_dpp v157, v251, v157 quad_perm:[1,1,1,1] row_mask:0xf bank_mask:0xf// 00000000FAB4: 0B3B3AFA FF0055FB
	v_mul_f32_dpp v158, v251, v158 quad_perm:[2,2,2,2] row_mask:0xf bank_mask:0xf// 00000000FABC: 0B3D3CFA FF00AAFB
	v_mul_f32_dpp v159, v251, v159 quad_perm:[3,3,3,3] row_mask:0xf bank_mask:0xf// 00000000FAC4: 0B3F3EFA FF00FFFB
	v_mov_b32_e32 v48, v144                                    // 00000000FACC: 7E600390
	v_max3_f32 v48, v144, v145, v48                            // 00000000FAD0: D1D30030 04C32390
	v_max3_f32 v48, v146, v147, v48                            // 00000000FAD8: D1D30030 04C32792
	v_max3_f32 v48, v148, v149, v48                            // 00000000FAE0: D1D30030 04C32B94
	v_max3_f32 v48, v150, v151, v48                            // 00000000FAE8: D1D30030 04C32F96
	v_max3_f32 v48, v152, v153, v48                            // 00000000FAF0: D1D30030 04C33398
	v_max3_f32 v48, v154, v155, v48                            // 00000000FAF8: D1D30030 04C3379A
	v_max3_f32 v48, v156, v157, v48                            // 00000000FB00: D1D30030 04C33B9C
	v_max3_f32 v48, v158, v159, v48                            // 00000000FB08: D1D30030 04C33F9E
	ds_write_b32 v8, v48 offset:16896                          // 00000000FB10: D81A4200 00003008
	v_mul_f32_e32 v224, v51, v224                              // 00000000FB18: 0BC1C133
	v_mul_f32_e32 v225, v51, v225                              // 00000000FB1C: 0BC3C333
	v_mul_f32_e32 v226, v51, v226                              // 00000000FB20: 0BC5C533
	v_mul_f32_e32 v227, v51, v227                              // 00000000FB24: 0BC7C733
	v_mul_f32_e32 v228, v51, v228                              // 00000000FB28: 0BC9C933
	v_mul_f32_e32 v229, v51, v229                              // 00000000FB2C: 0BCBCB33
	v_mul_f32_e32 v230, v51, v230                              // 00000000FB30: 0BCDCD33
	v_mul_f32_e32 v231, v51, v231                              // 00000000FB34: 0BCFCF33
	s_waitcnt lgkmcnt(0)                                       // 00000000FB38: BF8CC07F
	s_barrier                                                  // 00000000FB3C: BF8A0000
	ds_read_b32 v64, v7 offset:16896                           // 00000000FB40: D86C4200 40000007
	ds_read_b32 v65, v7 offset:16960                           // 00000000FB48: D86C4240 41000007
	ds_read_b32 v66, v7 offset:17024                           // 00000000FB50: D86C4280 42000007
	ds_read_b32 v67, v7 offset:17088                           // 00000000FB58: D86C42C0 43000007
	ds_read_b32 v68, v7 offset:17152                           // 00000000FB60: D86C4300 44000007
	ds_read_b32 v69, v7 offset:17216                           // 00000000FB68: D86C4340 45000007
	ds_read_b32 v70, v7 offset:17280                           // 00000000FB70: D86C4380 46000007
	ds_read_b32 v71, v7 offset:17344                           // 00000000FB78: D86C43C0 47000007
	ds_read_b32 v72, v7 offset:17408                           // 00000000FB80: D86C4400 48000007
	ds_read_b32 v73, v7 offset:17472                           // 00000000FB88: D86C4440 49000007
	ds_read_b32 v74, v7 offset:17536                           // 00000000FB90: D86C4480 4A000007
	ds_read_b32 v75, v7 offset:17600                           // 00000000FB98: D86C44C0 4B000007
	ds_read_b32 v76, v7 offset:17664                           // 00000000FBA0: D86C4500 4C000007
	ds_read_b32 v77, v7 offset:17728                           // 00000000FBA8: D86C4540 4D000007
	ds_read_b32 v78, v7 offset:17792                           // 00000000FBB0: D86C4580 4E000007
	ds_read_b32 v79, v7 offset:17856                           // 00000000FBB8: D86C45C0 4F000007
	v_mul_f32_e32 v192, v46, v192                              // 00000000FBC0: 0B81812E
	v_mul_f32_e32 v193, v46, v193                              // 00000000FBC4: 0B83832E
	v_mul_f32_e32 v194, v46, v194                              // 00000000FBC8: 0B85852E
	v_mul_f32_e32 v195, v46, v195                              // 00000000FBCC: 0B87872E
	v_mul_f32_e32 v196, v46, v196                              // 00000000FBD0: 0B89892E
	v_mul_f32_e32 v197, v46, v197                              // 00000000FBD4: 0B8B8B2E
	v_mul_f32_e32 v198, v46, v198                              // 00000000FBD8: 0B8D8D2E
	v_mul_f32_e32 v199, v46, v199                              // 00000000FBDC: 0B8F8F2E
	s_waitcnt lgkmcnt(0)                                       // 00000000FBE0: BF8CC07F
	v_max3_f32 v48, v64, v65, v48                              // 00000000FBE4: D1D30030 04C28340
	v_max3_f32 v48, v66, v67, v48                              // 00000000FBEC: D1D30030 04C28742
	v_max3_f32 v48, v68, v69, v48                              // 00000000FBF4: D1D30030 04C28B44
	v_max3_f32 v48, v70, v71, v48                              // 00000000FBFC: D1D30030 04C28F46
	v_max3_f32 v48, v72, v73, v48                              // 00000000FC04: D1D30030 04C29348
	v_max3_f32 v48, v74, v75, v48                              // 00000000FC0C: D1D30030 04C2974A
	v_max3_f32 v48, v76, v77, v48                              // 00000000FC14: D1D30030 04C29B4C
	v_max3_f32 v48, v78, v79, v48                              // 00000000FC1C: D1D30030 04C29F4E
	v_mov_b32_e32 v64, 0xff800000                              // 00000000FC24: 7E8002FF FF800000
	v_cmp_eq_u32_e64 s[40:41], v64, v13                        // 00000000FC2C: D0CA0028 00021B40
	s_nop 1                                                    // 00000000FC34: BF800001
	v_max_f32_e32 v15, v48, v13                                // 00000000FC38: 161E1B30
	v_mul_f32_e32 v53, s64, v15                                // 00000000FC3C: 0A6A1E40
	v_fma_f32 v144, v144, s64, -v53                            // 00000000FC40: D1CB0090 84D48190
	v_fma_f32 v145, v145, s64, -v53                            // 00000000FC48: D1CB0091 84D48191
	v_fma_f32 v146, v146, s64, -v53                            // 00000000FC50: D1CB0092 84D48192
	v_fma_f32 v147, v147, s64, -v53                            // 00000000FC58: D1CB0093 84D48193
	v_fma_f32 v148, v148, s64, -v53                            // 00000000FC60: D1CB0094 84D48194
	v_fma_f32 v149, v149, s64, -v53                            // 00000000FC68: D1CB0095 84D48195
	v_fma_f32 v150, v150, s64, -v53                            // 00000000FC70: D1CB0096 84D48196
	v_fma_f32 v151, v151, s64, -v53                            // 00000000FC78: D1CB0097 84D48197
	v_fma_f32 v152, v152, s64, -v53                            // 00000000FC80: D1CB0098 84D48198
	v_fma_f32 v153, v153, s64, -v53                            // 00000000FC88: D1CB0099 84D48199
	v_fma_f32 v154, v154, s64, -v53                            // 00000000FC90: D1CB009A 84D4819A
	v_fma_f32 v155, v155, s64, -v53                            // 00000000FC98: D1CB009B 84D4819B
	v_fma_f32 v156, v156, s64, -v53                            // 00000000FCA0: D1CB009C 84D4819C
	v_fma_f32 v157, v157, s64, -v53                            // 00000000FCA8: D1CB009D 84D4819D
	v_fma_f32 v158, v158, s64, -v53                            // 00000000FCB0: D1CB009E 84D4819E
	v_fma_f32 v159, v159, s64, -v53                            // 00000000FCB8: D1CB009F 84D4819F
	v_exp_f32_e32 v144, v144                                   // 00000000FCC0: 7F204190
	v_exp_f32_e32 v145, v145                                   // 00000000FCC4: 7F224191
	v_exp_f32_e32 v146, v146                                   // 00000000FCC8: 7F244192
	v_exp_f32_e32 v147, v147                                   // 00000000FCCC: 7F264193
	v_exp_f32_e32 v148, v148                                   // 00000000FCD0: 7F284194
	v_exp_f32_e32 v149, v149                                   // 00000000FCD4: 7F2A4195
	v_exp_f32_e32 v150, v150                                   // 00000000FCD8: 7F2C4196
	v_exp_f32_e32 v151, v151                                   // 00000000FCDC: 7F2E4197
	v_exp_f32_e32 v152, v152                                   // 00000000FCE0: 7F304198
	v_exp_f32_e32 v153, v153                                   // 00000000FCE4: 7F324199
	v_exp_f32_e32 v154, v154                                   // 00000000FCE8: 7F34419A
	v_exp_f32_e32 v155, v155                                   // 00000000FCEC: 7F36419B
	v_exp_f32_e32 v156, v156                                   // 00000000FCF0: 7F38419C
	v_exp_f32_e32 v157, v157                                   // 00000000FCF4: 7F3A419D
	v_exp_f32_e32 v158, v158                                   // 00000000FCF8: 7F3C419E
	v_exp_f32_e32 v159, v159                                   // 00000000FCFC: 7F3E419F
	v_mul_f32_dpp v240, v252, v144 quad_perm:[0,0,0,0] row_mask:0xf bank_mask:0xf// 00000000FD00: 0BE120FA FF0000FC
	v_mul_f32_dpp v241, v252, v145 quad_perm:[1,1,1,1] row_mask:0xf bank_mask:0xf// 00000000FD08: 0BE322FA FF0055FC
	v_mul_f32_dpp v242, v252, v146 quad_perm:[2,2,2,2] row_mask:0xf bank_mask:0xf// 00000000FD10: 0BE524FA FF00AAFC
	v_mul_f32_dpp v243, v252, v147 quad_perm:[3,3,3,3] row_mask:0xf bank_mask:0xf// 00000000FD18: 0BE726FA FF00FFFC
	v_mul_f32_dpp v244, v253, v148 quad_perm:[0,0,0,0] row_mask:0xf bank_mask:0xf// 00000000FD20: 0BE928FA FF0000FD
	v_mul_f32_dpp v245, v253, v149 quad_perm:[1,1,1,1] row_mask:0xf bank_mask:0xf// 00000000FD28: 0BEB2AFA FF0055FD
	v_mul_f32_dpp v246, v253, v150 quad_perm:[2,2,2,2] row_mask:0xf bank_mask:0xf// 00000000FD30: 0BED2CFA FF00AAFD
	v_mul_f32_dpp v247, v253, v151 quad_perm:[3,3,3,3] row_mask:0xf bank_mask:0xf// 00000000FD38: 0BEF2EFA FF00FFFD
	v_mul_f32_dpp v248, v254, v152 quad_perm:[0,0,0,0] row_mask:0xf bank_mask:0xf// 00000000FD40: 0BF130FA FF0000FE
	v_mul_f32_dpp v249, v254, v153 quad_perm:[1,1,1,1] row_mask:0xf bank_mask:0xf// 00000000FD48: 0BF332FA FF0055FE
	v_mul_f32_dpp v250, v254, v154 quad_perm:[2,2,2,2] row_mask:0xf bank_mask:0xf// 00000000FD50: 0BF534FA FF00AAFE
	v_mul_f32_dpp v251, v254, v155 quad_perm:[3,3,3,3] row_mask:0xf bank_mask:0xf// 00000000FD58: 0BF736FA FF00FFFE
	v_mul_f32_dpp v252, v255, v156 quad_perm:[0,0,0,0] row_mask:0xf bank_mask:0xf// 00000000FD60: 0BF938FA FF0000FF
	v_mul_f32_dpp v253, v255, v157 quad_perm:[1,1,1,1] row_mask:0xf bank_mask:0xf// 00000000FD68: 0BFB3AFA FF0055FF
	v_mul_f32_dpp v254, v255, v158 quad_perm:[2,2,2,2] row_mask:0xf bank_mask:0xf// 00000000FD70: 0BFD3CFA FF00AAFF
	v_mul_f32_dpp v255, v255, v159 quad_perm:[3,3,3,3] row_mask:0xf bank_mask:0xf// 00000000FD78: 0BFF3EFA FF00FFFF
	v_mov_b32_e32 v48, 0x358637bd                              // 00000000FD80: 7E6002FF 358637BD
	v_max3_f32 v48, |v240|, |v241|, v48                        // 00000000FD88: D1D30330 04C3E3F0
	v_max3_f32 v48, |v242|, |v243|, v48                        // 00000000FD90: D1D30330 04C3E7F2
	v_max3_f32 v48, |v244|, |v245|, v48                        // 00000000FD98: D1D30330 04C3EBF4
	v_max3_f32 v48, |v246|, |v247|, v48                        // 00000000FDA0: D1D30330 04C3EFF6
	v_max3_f32 v48, |v248|, |v249|, v48                        // 00000000FDA8: D1D30330 04C3F3F8
	v_max3_f32 v48, |v250|, |v251|, v48                        // 00000000FDB0: D1D30330 04C3F7FA
	v_max3_f32 v48, |v252|, |v253|, v48                        // 00000000FDB8: D1D30330 04C3FBFC
	v_max3_f32 v48, |v254|, |v255|, v48                        // 00000000FDC0: D1D30330 04C3FFFE
	ds_write_b32 v8, v48 offset:20992                          // 00000000FDC8: D81A5200 00003008
	v_sub_f32_e32 v51, v13, v15                                // 00000000FDD0: 04661F0D
	v_cndmask_b32_e64 v51, v51, 0, s[40:41]                    // 00000000FDD4: D1000033 00A10133
	v_mov_b32_e32 v13, v15                                     // 00000000FDDC: 7E1A030F
	v_mul_f32_e32 v51, s64, v51                                // 00000000FDE0: 0A666640
	v_exp_f32_e32 v51, v51                                     // 00000000FDE4: 7E664133
	s_waitcnt lgkmcnt(0)                                       // 00000000FDE8: BF8CC07F
	s_barrier                                                  // 00000000FDEC: BF8A0000
	ds_read_b32 v64, v7 offset:20992                           // 00000000FDF0: D86C5200 40000007
	ds_read_b32 v65, v7 offset:21056                           // 00000000FDF8: D86C5240 41000007
	ds_read_b32 v66, v7 offset:21120                           // 00000000FE00: D86C5280 42000007
	ds_read_b32 v67, v7 offset:21184                           // 00000000FE08: D86C52C0 43000007
	ds_read_b32 v68, v7 offset:21248                           // 00000000FE10: D86C5300 44000007
	ds_read_b32 v69, v7 offset:21312                           // 00000000FE18: D86C5340 45000007
	ds_read_b32 v70, v7 offset:21376                           // 00000000FE20: D86C5380 46000007
	ds_read_b32 v71, v7 offset:21440                           // 00000000FE28: D86C53C0 47000007
	ds_read_b32 v72, v7 offset:21504                           // 00000000FE30: D86C5400 48000007
	ds_read_b32 v73, v7 offset:21568                           // 00000000FE38: D86C5440 49000007
	ds_read_b32 v74, v7 offset:21632                           // 00000000FE40: D86C5480 4A000007
	ds_read_b32 v75, v7 offset:21696                           // 00000000FE48: D86C54C0 4B000007
	ds_read_b32 v76, v7 offset:21760                           // 00000000FE50: D86C5500 4C000007
	ds_read_b32 v77, v7 offset:21824                           // 00000000FE58: D86C5540 4D000007
	ds_read_b32 v78, v7 offset:21888                           // 00000000FE60: D86C5580 4E000007
	ds_read_b32 v79, v7 offset:21952                           // 00000000FE68: D86C55C0 4F000007
	v_mul_f32_e32 v40, v51, v40                                // 00000000FE70: 0A505133
	v_mov_b32_e32 v15, v144                                    // 00000000FE74: 7E1E0390
	v_add_f32_e32 v15, v145, v15                               // 00000000FE78: 021E1F91
	v_add_f32_e32 v15, v146, v15                               // 00000000FE7C: 021E1F92
	v_add_f32_e32 v15, v147, v15                               // 00000000FE80: 021E1F93
	v_add_f32_e32 v15, v148, v15                               // 00000000FE84: 021E1F94
	v_add_f32_e32 v15, v149, v15                               // 00000000FE88: 021E1F95
	v_add_f32_e32 v15, v150, v15                               // 00000000FE8C: 021E1F96
	v_add_f32_e32 v15, v151, v15                               // 00000000FE90: 021E1F97
	v_add_f32_e32 v15, v152, v15                               // 00000000FE94: 021E1F98
	v_add_f32_e32 v15, v153, v15                               // 00000000FE98: 021E1F99
	v_add_f32_e32 v15, v154, v15                               // 00000000FE9C: 021E1F9A
	v_add_f32_e32 v15, v155, v15                               // 00000000FEA0: 021E1F9B
	v_add_f32_e32 v15, v156, v15                               // 00000000FEA4: 021E1F9C
	v_add_f32_e32 v15, v157, v15                               // 00000000FEA8: 021E1F9D
	v_add_f32_e32 v15, v158, v15                               // 00000000FEAC: 021E1F9E
	v_add_f32_e32 v15, v159, v15                               // 00000000FEB0: 021E1F9F
	v_add_f32_e32 v40, v15, v40                                // 00000000FEB4: 0250510F
	s_waitcnt lgkmcnt(0)                                       // 00000000FEB8: BF8CC07F
	v_max3_f32 v48, |v64|, |v65|, v48                          // 00000000FEBC: D1D30330 04C28340
	v_max3_f32 v48, |v66|, |v67|, v48                          // 00000000FEC4: D1D30330 04C28742
	v_max3_f32 v48, |v68|, |v69|, v48                          // 00000000FECC: D1D30330 04C28B44
	v_max3_f32 v48, |v70|, |v71|, v48                          // 00000000FED4: D1D30330 04C28F46
	v_max3_f32 v48, |v72|, |v73|, v48                          // 00000000FEDC: D1D30330 04C29348
	v_max3_f32 v48, |v74|, |v75|, v48                          // 00000000FEE4: D1D30330 04C2974A
	v_max3_f32 v48, |v76|, |v77|, v48                          // 00000000FEEC: D1D30330 04C29B4C
	v_max3_f32 v48, |v78|, |v79|, v48                          // 00000000FEF4: D1D30330 04C29F4E
	s_nop 2                                                    // 00000000FEFC: BF800002
	v_rcp_f32_e32 v48, v48                                     // 00000000FF00: 7E604530
	s_nop 1                                                    // 00000000FF04: BF800001
	v_mul_f32_e32 v48, 0x43e00000, v48                         // 00000000FF08: 0A6060FF 43E00000
	v_mul_f32_e32 v144, v48, v240                              // 00000000FF10: 0B21E130
	v_mul_f32_e32 v145, v48, v241                              // 00000000FF14: 0B23E330
	v_mul_f32_e32 v146, v48, v242                              // 00000000FF18: 0B25E530
	v_mul_f32_e32 v147, v48, v243                              // 00000000FF1C: 0B27E730
	v_mul_f32_e32 v148, v48, v244                              // 00000000FF20: 0B29E930
	v_mul_f32_e32 v149, v48, v245                              // 00000000FF24: 0B2BEB30
	v_mul_f32_e32 v150, v48, v246                              // 00000000FF28: 0B2DED30
	v_mul_f32_e32 v151, v48, v247                              // 00000000FF2C: 0B2FEF30
	v_mul_f32_e32 v152, v48, v248                              // 00000000FF30: 0B31F130
	v_mul_f32_e32 v153, v48, v249                              // 00000000FF34: 0B33F330
	v_mul_f32_e32 v154, v48, v250                              // 00000000FF38: 0B35F530
	v_mul_f32_e32 v155, v48, v251                              // 00000000FF3C: 0B37F730
	v_mul_f32_e32 v156, v48, v252                              // 00000000FF40: 0B39F930
	v_mul_f32_e32 v157, v48, v253                              // 00000000FF44: 0B3BFB30
	v_mul_f32_e32 v158, v48, v254                              // 00000000FF48: 0B3DFD30
	v_mul_f32_e32 v159, v48, v255                              // 00000000FF4C: 0B3FFF30
	v_cvt_pk_fp8_f32 v144, v144, v145                          // 00000000FF50: D2A20090 00032390
	v_cvt_pk_fp8_f32 v144, v146, v147 op_sel:[0,0,1]           // 00000000FF58: D2A24090 00032792
	v_cvt_pk_fp8_f32 v145, v148, v149                          // 00000000FF60: D2A20091 00032B94
	v_cvt_pk_fp8_f32 v145, v150, v151 op_sel:[0,0,1]           // 00000000FF68: D2A24091 00032F96
	v_cvt_pk_fp8_f32 v146, v152, v153                          // 00000000FF70: D2A20092 00033398
	v_cvt_pk_fp8_f32 v146, v154, v155 op_sel:[0,0,1]           // 00000000FF78: D2A24092 0003379A
	v_cvt_pk_fp8_f32 v147, v156, v157                          // 00000000FF80: D2A20093 00033B9C
	v_cvt_pk_fp8_f32 v147, v158, v159 op_sel:[0,0,1]           // 00000000FF88: D2A24093 00033F9E
	ds_write_b32 v10, v144 offset:33280                        // 00000000FF90: D81A8200 0000900A
	ds_write_b32 v10, v145 offset:34304                        // 00000000FF98: D81A8600 0000910A
	ds_write_b32 v10, v146 offset:35328                        // 00000000FFA0: D81A8A00 0000920A
	ds_write_b32 v10, v147 offset:36352                        // 00000000FFA8: D81A8E00 0000930A
	v_add_f32_e32 v224, v224, v192                             // 00000000FFB0: 03C181E0
	v_add_f32_e32 v225, v225, v193                             // 00000000FFB4: 03C383E1
	v_add_f32_e32 v226, v226, v194                             // 00000000FFB8: 03C585E2
	v_add_f32_e32 v227, v227, v195                             // 00000000FFBC: 03C787E3
	v_add_f32_e32 v228, v228, v196                             // 00000000FFC0: 03C989E4
	v_add_f32_e32 v229, v229, v197                             // 00000000FFC4: 03CB8BE5
	v_add_f32_e32 v230, v230, v198                             // 00000000FFC8: 03CD8DE6
	v_add_f32_e32 v231, v231, v199                             // 00000000FFCC: 03CF8FE7
	v_rcp_f32_e32 v46, v48                                     // 00000000FFD0: 7E5C4530
	s_waitcnt lgkmcnt(0)                                       // 00000000FFD4: BF8CC07F
	s_barrier                                                  // 00000000FFD8: BF8A0000
	ds_read_b64 v[144:145], v9 offset:33280                    // 00000000FFDC: D8EC8200 90000009
	ds_read_b64 v[146:147], v9 offset:33408                    // 00000000FFE4: D8EC8280 92000009
	ds_read_b64 v[148:149], v9 offset:34304                    // 00000000FFEC: D8EC8600 94000009
	ds_read_b64 v[150:151], v9 offset:34432                    // 00000000FFF4: D8EC8680 96000009
	ds_read_b64 v[152:153], v9 offset:35328                    // 00000000FFFC: D8EC8A00 98000009
	ds_read_b64 v[154:155], v9 offset:35456                    // 000000010004: D8EC8A80 9A000009
	ds_read_b64 v[156:157], v9 offset:36352                    // 00000001000C: D8EC8E00 9C000009
	ds_read_b64 v[158:159], v9 offset:36480                    // 000000010014: D8EC8E80 9E000009
	s_waitcnt vmcnt(15)                                        // 00000001001C: BF8C0F7F
	v_mfma_f32_16x16x32_fp8_fp8 v[176:179], a[64:65], v[112:113], 0// 000000010020: D3F300B0 0A02E140
	v_mfma_f32_16x16x32_fp8_fp8 v[176:179], a[66:67], v[114:115], v[176:179]// 000000010028: D3F300B0 0EC2E542
	buffer_load_dwordx4 a[112:115], v34, s[20:23], 0 offen offset:1024// 000000010030: E05C1400 80857022
	v_mfma_f32_16x16x32_fp8_fp8 v[176:179], a[68:69], v[116:117], v[176:179]// 000000010038: D3F300B0 0EC2E944
	v_mfma_f32_16x16x32_fp8_fp8 v[176:179], a[70:71], v[118:119], v[176:179]// 000000010040: D3F300B0 0EC2ED46
	v_mfma_f32_16x16x32_fp8_fp8 v[176:179], a[72:73], v[120:121], v[176:179]// 000000010048: D3F300B0 0EC2F148
	v_mfma_f32_16x16x32_fp8_fp8 v[176:179], a[74:75], v[122:123], v[176:179]// 000000010050: D3F300B0 0EC2F54A
	buffer_load_dwordx4 a[116:119], v35, s[20:23], 0 offen offset:1024// 000000010058: E05C1400 80857423
	v_mfma_f32_16x16x32_fp8_fp8 v[176:179], a[76:77], v[124:125], v[176:179]// 000000010060: D3F300B0 0EC2F94C
	v_mfma_f32_16x16x32_fp8_fp8 v[176:179], a[78:79], v[126:127], v[176:179]// 000000010068: D3F300B0 0EC2FD4E
	v_mfma_f32_16x16x32_fp8_fp8 v[180:183], a[80:81], v[112:113], 0// 000000010070: D3F300B4 0A02E150
	v_mfma_f32_16x16x32_fp8_fp8 v[180:183], a[82:83], v[114:115], v[180:183]// 000000010078: D3F300B4 0ED2E552
	buffer_load_dwordx4 a[120:123], v36, s[20:23], 0 offen offset:1024// 000000010080: E05C1400 80857824
	v_mfma_f32_16x16x32_fp8_fp8 v[180:183], a[84:85], v[116:117], v[180:183]// 000000010088: D3F300B4 0ED2E954
	v_mfma_f32_16x16x32_fp8_fp8 v[180:183], a[86:87], v[118:119], v[180:183]// 000000010090: D3F300B4 0ED2ED56
	v_mfma_f32_16x16x32_fp8_fp8 v[180:183], a[88:89], v[120:121], v[180:183]// 000000010098: D3F300B4 0ED2F158
	v_mfma_f32_16x16x32_fp8_fp8 v[180:183], a[90:91], v[122:123], v[180:183]// 0000000100A0: D3F300B4 0ED2F55A
	buffer_load_dwordx4 a[124:127], v37, s[20:23], 0 offen offset:1024// 0000000100A8: E05C1400 80857C25
	v_mfma_f32_16x16x32_fp8_fp8 v[180:183], a[92:93], v[124:125], v[180:183]// 0000000100B0: D3F300B4 0ED2F95C
	s_lshr_b32 s57, s70, 4                                     // 0000000100B8: 8F398446
	s_add_u32 s57, 48, s57                                     // 0000000100BC: 803939B0
	v_mfma_f32_16x16x32_fp8_fp8 v[180:183], a[94:95], v[126:127], v[180:183]// 0000000100C0: D3F300B4 0ED2FD5E
	s_cmp_ge_u32 s57, s73                                      // 0000000100C8: BF094939
	s_cselect_b32 s56, 0, s56                                  // 0000000100CC: 85383880
	v_mfma_f32_16x16x32_fp8_fp8 v[184:187], a[64:65], v[128:129], 0// 0000000100D0: D3F300B8 0A030140
	v_mfma_f32_16x16x32_fp8_fp8 v[184:187], a[66:67], v[130:131], v[184:187]// 0000000100D8: D3F300B8 0EE30542
	v_mfma_f32_16x16x32_fp8_fp8 v[184:187], a[68:69], v[132:133], v[184:187]// 0000000100E0: D3F300B8 0EE30944
	v_mfma_f32_16x16x32_fp8_fp8 v[184:187], a[70:71], v[134:135], v[184:187]// 0000000100E8: D3F300B8 0EE30D46
	v_mfma_f32_16x16x32_fp8_fp8 v[184:187], a[72:73], v[136:137], v[184:187]// 0000000100F0: D3F300B8 0EE31148
	v_mfma_f32_16x16x32_fp8_fp8 v[184:187], a[74:75], v[138:139], v[184:187]// 0000000100F8: D3F300B8 0EE3154A
	v_mfma_f32_16x16x32_fp8_fp8 v[184:187], a[76:77], v[140:141], v[184:187]// 000000010100: D3F300B8 0EE3194C
	v_mfma_f32_16x16x32_fp8_fp8 v[184:187], a[78:79], v[142:143], v[184:187]// 000000010108: D3F300B8 0EE31D4E
	v_mfma_f32_16x16x32_fp8_fp8 v[188:191], a[80:81], v[128:129], 0// 000000010110: D3F300BC 0A030150
	v_mfma_f32_16x16x32_fp8_fp8 v[188:191], a[82:83], v[130:131], v[188:191]// 000000010118: D3F300BC 0EF30552
	v_mfma_f32_16x16x32_fp8_fp8 v[188:191], a[84:85], v[132:133], v[188:191]// 000000010120: D3F300BC 0EF30954
	v_mfma_f32_16x16x32_fp8_fp8 v[188:191], a[86:87], v[134:135], v[188:191]// 000000010128: D3F300BC 0EF30D56
	v_mfma_f32_16x16x32_fp8_fp8 v[188:191], a[88:89], v[136:137], v[188:191]// 000000010130: D3F300BC 0EF31158
	v_mfma_f32_16x16x32_fp8_fp8 v[188:191], a[90:91], v[138:139], v[188:191]// 000000010138: D3F300BC 0EF3155A
	v_mfma_f32_16x16x32_fp8_fp8 v[188:191], a[92:93], v[140:141], v[188:191]// 000000010140: D3F300BC 0EF3195C
	v_mfma_f32_16x16x32_fp8_fp8 v[188:191], a[94:95], v[142:143], v[188:191]// 000000010148: D3F300BC 0EF31D5E
	v_mfma_f32_16x16x32_fp8_fp8 v[192:195], a[64:65], v[144:145], 0// 000000010150: D3F300C0 0A032140
	v_mfma_f32_16x16x32_fp8_fp8 v[192:195], a[66:67], v[146:147], v[192:195]// 000000010158: D3F300C0 0F032542
	v_mfma_f32_16x16x32_fp8_fp8 v[192:195], a[68:69], v[148:149], v[192:195]// 000000010160: D3F300C0 0F032944
	v_mfma_f32_16x16x32_fp8_fp8 v[192:195], a[70:71], v[150:151], v[192:195]// 000000010168: D3F300C0 0F032D46
	v_mfma_f32_16x16x32_fp8_fp8 v[192:195], a[72:73], v[152:153], v[192:195]// 000000010170: D3F300C0 0F033148
	v_mfma_f32_16x16x32_fp8_fp8 v[192:195], a[74:75], v[154:155], v[192:195]// 000000010178: D3F300C0 0F03354A
	v_mfma_f32_16x16x32_fp8_fp8 v[192:195], a[76:77], v[156:157], v[192:195]// 000000010180: D3F300C0 0F03394C
	v_mfma_f32_16x16x32_fp8_fp8 v[192:195], a[78:79], v[158:159], v[192:195]// 000000010188: D3F300C0 0F033D4E
	v_mfma_f32_16x16x32_fp8_fp8 v[196:199], a[80:81], v[144:145], 0// 000000010190: D3F300C4 0A032150
	v_mfma_f32_16x16x32_fp8_fp8 v[196:199], a[82:83], v[146:147], v[196:199]// 000000010198: D3F300C4 0F132552
	v_mfma_f32_16x16x32_fp8_fp8 v[196:199], a[84:85], v[148:149], v[196:199]// 0000000101A0: D3F300C4 0F132954
	v_mfma_f32_16x16x32_fp8_fp8 v[196:199], a[86:87], v[150:151], v[196:199]// 0000000101A8: D3F300C4 0F132D56
	v_mfma_f32_16x16x32_fp8_fp8 v[196:199], a[88:89], v[152:153], v[196:199]// 0000000101B0: D3F300C4 0F133158
	v_mfma_f32_16x16x32_fp8_fp8 v[196:199], a[90:91], v[154:155], v[196:199]// 0000000101B8: D3F300C4 0F13355A
	v_mfma_f32_16x16x32_fp8_fp8 v[196:199], a[92:93], v[156:157], v[196:199]// 0000000101C0: D3F300C4 0F13395C
	v_mfma_f32_16x16x32_fp8_fp8 v[196:199], a[94:95], v[158:159], v[196:199]// 0000000101C8: D3F300C4 0F133D5E
	v_add_u32_e32 v1, s56, v1                                  // 0000000101D0: 68020238
	s_addk_i32 s70, 0x100                                      // 0000000101D4: B7460100
	s_cmp_lt_i32 s70, s71                                      // 0000000101D8: BF044746
	s_cbranch_scc0 label_3E2F                                  // 0000000101DC: BF840637
	s_waitcnt vmcnt(8) lgkmcnt(0)                              // 0000000101E0: BF8C0078
	v_mul_u32_u24_dpp v64, v16, v54 row_newbcast:0 row_mask:0xf bank_mask:0xf// 0000000101E4: 10806CFA FF015010
	v_mul_u32_u24_dpp v65, v16, v54 row_newbcast:4 row_mask:0xf bank_mask:0xf// 0000000101EC: 10826CFA FF015410
	v_mul_u32_u24_dpp v66, v16, v54 row_newbcast:8 row_mask:0xf bank_mask:0xf// 0000000101F4: 10846CFA FF015810
	v_mul_u32_u24_dpp v67, v16, v54 row_newbcast:12 row_mask:0xf bank_mask:0xf// 0000000101FC: 10866CFA FF015C10
	v_add_u32_e32 v22, v64, v5                                 // 000000010204: 682C0B40
	v_add_u32_e32 v23, v65, v5                                 // 000000010208: 682E0B41
	v_add_u32_e32 v24, v66, v5                                 // 00000001020C: 68300B42
	v_add_u32_e32 v25, v67, v5                                 // 000000010210: 68320B43
	v_mul_u32_u24_dpp v64, v16, v63 quad_perm:[0,0,0,0] row_mask:0xf bank_mask:0xf// 000000010214: 10807EFA FF000010
	v_add_u32_e32 v2, v64, v59                                 // 00000001021C: 68047740
	v_mul_u32_u24_dpp v64, v16, v63 quad_perm:[0,0,0,0] row_mask:0xf bank_mask:0xf// 000000010220: 10807EFA FF000010
	v_add_u32_e32 v55, v64, v60                                // 000000010228: 686E7940
	v_mfma_f32_16x16x32_fp8_fp8 v[112:115], a[32:33], v[80:81], 0// 00000001022C: D3F30070 0A02A120
	v_mfma_f32_16x16x32_fp8_fp8 v[112:115], a[34:35], v[82:83], v[112:115]// 000000010234: D3F30070 0DC2A522
	buffer_load_dwordx4 a[0:3], v22, s[16:19], 0 offen         // 00000001023C: E05C1000 80840016
	v_mfma_f32_16x16x32_fp8_fp8 v[112:115], a[36:37], v[84:85], v[112:115]// 000000010244: D3F30070 0DC2A924
	v_mfma_f32_16x16x32_fp8_fp8 v[112:115], a[38:39], v[86:87], v[112:115]// 00000001024C: D3F30070 0DC2AD26
	buffer_load_dword v17, v1, s[24:27], 0 offen               // 000000010254: E0501000 80061101
	v_mfma_f32_16x16x32_fp8_fp8 v[116:119], a[40:41], v[80:81], 0// 00000001025C: D3F30074 0A02A128
	v_mfma_f32_16x16x32_fp8_fp8 v[116:119], a[42:43], v[82:83], v[116:119]// 000000010264: D3F30074 0DD2A52A
	buffer_load_dwordx4 a[4:7], v22, s[16:19], 0 offen offset:1024// 00000001026C: E05C1400 80840416
	v_mfma_f32_16x16x32_fp8_fp8 v[116:119], a[44:45], v[84:85], v[116:119]// 000000010274: D3F30074 0DD2A92C
	v_mfma_f32_16x16x32_fp8_fp8 v[116:119], a[46:47], v[86:87], v[116:119]// 00000001027C: D3F30074 0DD2AD2E
	v_mfma_f32_16x16x32_fp8_fp8 v[120:123], a[48:49], v[80:81], 0// 000000010284: D3F30078 0A02A130
	v_mfma_f32_16x16x32_fp8_fp8 v[120:123], a[50:51], v[82:83], v[120:123]// 00000001028C: D3F30078 0DE2A532
	buffer_load_dwordx4 a[8:11], v23, s[16:19], 0 offen        // 000000010294: E05C1000 80840817
	v_mfma_f32_16x16x32_fp8_fp8 v[120:123], a[52:53], v[84:85], v[120:123]// 00000001029C: D3F30078 0DE2A934
	v_mfma_f32_16x16x32_fp8_fp8 v[120:123], a[54:55], v[86:87], v[120:123]// 0000000102A4: D3F30078 0DE2AD36
	v_mfma_f32_16x16x32_fp8_fp8 v[124:127], a[56:57], v[80:81], 0// 0000000102AC: D3F3007C 0A02A138
	v_mfma_f32_16x16x32_fp8_fp8 v[124:127], a[58:59], v[82:83], v[124:127]// 0000000102B4: D3F3007C 0DF2A53A
	buffer_load_dwordx4 a[12:15], v23, s[16:19], 0 offen offset:1024// 0000000102BC: E05C1400 80840C17
	v_mfma_f32_16x16x32_fp8_fp8 v[124:127], a[60:61], v[84:85], v[124:127]// 0000000102C4: D3F3007C 0DF2A93C
	v_mfma_f32_16x16x32_fp8_fp8 v[124:127], a[62:63], v[86:87], v[124:127]// 0000000102CC: D3F3007C 0DF2AD3E
	v_mfma_f32_16x16x32_fp8_fp8 v[128:131], a[32:33], v[88:89], 0// 0000000102D4: D3F30080 0A02B120
	v_mfma_f32_16x16x32_fp8_fp8 v[128:131], a[34:35], v[90:91], v[128:131]// 0000000102DC: D3F30080 0E02B522
	v_mfma_f32_16x16x32_fp8_fp8 v[128:131], a[36:37], v[92:93], v[128:131]// 0000000102E4: D3F30080 0E02B924
	v_mfma_f32_16x16x32_fp8_fp8 v[128:131], a[38:39], v[94:95], v[128:131]// 0000000102EC: D3F30080 0E02BD26
	v_mfma_f32_16x16x32_fp8_fp8 v[132:135], a[40:41], v[88:89], 0// 0000000102F4: D3F30084 0A02B128
	v_mfma_f32_16x16x32_fp8_fp8 v[132:135], a[42:43], v[90:91], v[132:135]// 0000000102FC: D3F30084 0E12B52A
	v_mfma_f32_16x16x32_fp8_fp8 v[132:135], a[44:45], v[92:93], v[132:135]// 000000010304: D3F30084 0E12B92C
	v_mfma_f32_16x16x32_fp8_fp8 v[132:135], a[46:47], v[94:95], v[132:135]// 00000001030C: D3F30084 0E12BD2E
	v_mfma_f32_16x16x32_fp8_fp8 v[136:139], a[48:49], v[88:89], 0// 000000010314: D3F30088 0A02B130
	v_mfma_f32_16x16x32_fp8_fp8 v[136:139], a[50:51], v[90:91], v[136:139]// 00000001031C: D3F30088 0E22B532
	v_mfma_f32_16x16x32_fp8_fp8 v[136:139], a[52:53], v[92:93], v[136:139]// 000000010324: D3F30088 0E22B934
	v_mfma_f32_16x16x32_fp8_fp8 v[136:139], a[54:55], v[94:95], v[136:139]// 00000001032C: D3F30088 0E22BD36
	v_mfma_f32_16x16x32_fp8_fp8 v[140:143], a[56:57], v[88:89], 0// 000000010334: D3F3008C 0A02B138
	v_mfma_f32_16x16x32_fp8_fp8 v[140:143], a[58:59], v[90:91], v[140:143]// 00000001033C: D3F3008C 0E32B53A
	v_mfma_f32_16x16x32_fp8_fp8 v[140:143], a[60:61], v[92:93], v[140:143]// 000000010344: D3F3008C 0E32B93C
	v_mfma_f32_16x16x32_fp8_fp8 v[140:143], a[62:63], v[94:95], v[140:143]// 00000001034C: D3F3008C 0E32BD3E
	v_mfma_f32_16x16x32_fp8_fp8 v[144:147], a[32:33], v[96:97], 0// 000000010354: D3F30090 0A02C120
	v_mfma_f32_16x16x32_fp8_fp8 v[144:147], a[34:35], v[98:99], v[144:147]// 00000001035C: D3F30090 0E42C522
	v_mfma_f32_16x16x32_fp8_fp8 v[144:147], a[36:37], v[100:101], v[144:147]// 000000010364: D3F30090 0E42C924
	v_mfma_f32_16x16x32_fp8_fp8 v[144:147], a[38:39], v[102:103], v[144:147]// 00000001036C: D3F30090 0E42CD26
	v_mfma_f32_16x16x32_fp8_fp8 v[148:151], a[40:41], v[96:97], 0// 000000010374: D3F30094 0A02C128
	v_mfma_f32_16x16x32_fp8_fp8 v[148:151], a[42:43], v[98:99], v[148:151]// 00000001037C: D3F30094 0E52C52A
	v_mfma_f32_16x16x32_fp8_fp8 v[148:151], a[44:45], v[100:101], v[148:151]// 000000010384: D3F30094 0E52C92C
	v_mfma_f32_16x16x32_fp8_fp8 v[148:151], a[46:47], v[102:103], v[148:151]// 00000001038C: D3F30094 0E52CD2E
	v_mfma_f32_16x16x32_fp8_fp8 v[152:155], a[48:49], v[96:97], 0// 000000010394: D3F30098 0A02C130
	v_mfma_f32_16x16x32_fp8_fp8 v[152:155], a[50:51], v[98:99], v[152:155]// 00000001039C: D3F30098 0E62C532
	v_mfma_f32_16x16x32_fp8_fp8 v[152:155], a[52:53], v[100:101], v[152:155]// 0000000103A4: D3F30098 0E62C934
	v_mfma_f32_16x16x32_fp8_fp8 v[152:155], a[54:55], v[102:103], v[152:155]// 0000000103AC: D3F30098 0E62CD36
	v_mfma_f32_16x16x32_fp8_fp8 v[156:159], a[56:57], v[96:97], 0// 0000000103B4: D3F3009C 0A02C138
	v_mfma_f32_16x16x32_fp8_fp8 v[156:159], a[58:59], v[98:99], v[156:159]// 0000000103BC: D3F3009C 0E72C53A
	v_mfma_f32_16x16x32_fp8_fp8 v[156:159], a[60:61], v[100:101], v[156:159]// 0000000103C4: D3F3009C 0E72C93C
	v_mfma_f32_16x16x32_fp8_fp8 v[156:159], a[62:63], v[102:103], v[156:159]// 0000000103CC: D3F3009C 0E72CD3E
	buffer_load_dword v42, v2, s[32:35], 0 offen               // 0000000103D4: E0501000 80082A02
	v_mov_b32_dpp v64, v43 row_shr:4 row_mask:0xf bank_mask:0xf// 0000000103DC: 7E8002FA FF01142B
	v_mov_b32_dpp v65, v43 row_shl:4 row_mask:0xf bank_mask:0xf// 0000000103E4: 7E8202FA FF01042B
	v_cndmask_b32_e64 v248, v43, v64, s[44:45]                 // 0000000103EC: D10000F8 00B2812B
	v_cndmask_b32_e64 v249, v65, v43, s[44:45]                 // 0000000103F4: D10000F9 00B25741
	v_mov_b32_dpp v64, v248 row_shr:8 row_mask:0xf bank_mask:0xf// 0000000103FC: 7E8002FA FF0118F8
	v_mov_b32_dpp v65, v248 row_shl:8 row_mask:0xf bank_mask:0xf// 000000010404: 7E8202FA FF0108F8
	v_mov_b32_dpp v66, v249 row_shr:8 row_mask:0xf bank_mask:0xf// 00000001040C: 7E8402FA FF0118F9
	v_mov_b32_dpp v67, v249 row_shl:8 row_mask:0xf bank_mask:0xf// 000000010414: 7E8602FA FF0108F9
	v_mov_b32_e32 v68, v248                                    // 00000001041C: 7E8803F8
	v_mov_b32_e32 v69, v249                                    // 000000010420: 7E8A03F9
	v_cndmask_b32_e64 v248, v68, v64, s[42:43]                 // 000000010424: D10000F8 00AA8144
	v_cndmask_b32_e64 v250, v68, v65, s[78:79]                 // 00000001042C: D10000FA 013A8344
	v_cndmask_b32_e64 v249, v69, v66, s[42:43]                 // 000000010434: D10000F9 00AA8545
	v_cndmask_b32_e64 v251, v69, v67, s[78:79]                 // 00000001043C: D10000FB 013A8745
	v_mov_b32_dpp v64, v58 row_shr:4 row_mask:0xf bank_mask:0xf// 000000010444: 7E8002FA FF01143A
	v_mov_b32_dpp v65, v58 row_shl:4 row_mask:0xf bank_mask:0xf// 00000001044C: 7E8202FA FF01043A
	v_cndmask_b32_e64 v252, v58, v64, s[44:45]                 // 000000010454: D10000FC 00B2813A
	v_cndmask_b32_e64 v253, v65, v58, s[44:45]                 // 00000001045C: D10000FD 00B27541
	v_mov_b32_dpp v64, v252 row_shr:8 row_mask:0xf bank_mask:0xf// 000000010464: 7E8002FA FF0118FC
	v_mov_b32_dpp v65, v252 row_shl:8 row_mask:0xf bank_mask:0xf// 00000001046C: 7E8202FA FF0108FC
	v_mov_b32_dpp v66, v253 row_shr:8 row_mask:0xf bank_mask:0xf// 000000010474: 7E8402FA FF0118FD
	v_mov_b32_dpp v67, v253 row_shl:8 row_mask:0xf bank_mask:0xf// 00000001047C: 7E8602FA FF0108FD
	v_mov_b32_e32 v68, v252                                    // 000000010484: 7E8803FC
	v_mov_b32_e32 v69, v253                                    // 000000010488: 7E8A03FD
	v_cndmask_b32_e64 v252, v68, v64, s[42:43]                 // 00000001048C: D10000FC 00AA8144
	v_cndmask_b32_e64 v254, v68, v65, s[78:79]                 // 000000010494: D10000FE 013A8344
	v_cndmask_b32_e64 v253, v69, v66, s[42:43]                 // 00000001049C: D10000FD 00AA8545
	v_cndmask_b32_e64 v255, v69, v67, s[78:79]                 // 0000000104A4: D10000FF 013A8745
	buffer_load_dword v57, v55, s[36:39], 0 offen              // 0000000104AC: E0501000 80093937
	v_mul_f32_e32 v112, v18, v112                              // 0000000104B4: 0AE0E112
	v_mul_f32_e32 v113, v18, v113                              // 0000000104B8: 0AE2E312
	v_mul_f32_e32 v114, v18, v114                              // 0000000104BC: 0AE4E512
	v_mul_f32_e32 v115, v18, v115                              // 0000000104C0: 0AE6E712
	v_mul_f32_e32 v116, v18, v116                              // 0000000104C4: 0AE8E912
	v_mul_f32_e32 v117, v18, v117                              // 0000000104C8: 0AEAEB12
	v_mul_f32_e32 v118, v18, v118                              // 0000000104CC: 0AECED12
	v_mul_f32_e32 v119, v18, v119                              // 0000000104D0: 0AEEEF12
	v_mul_f32_e32 v120, v18, v120                              // 0000000104D4: 0AF0F112
	v_mul_f32_e32 v121, v18, v121                              // 0000000104D8: 0AF2F312
	v_mul_f32_e32 v122, v18, v122                              // 0000000104DC: 0AF4F512
	v_mul_f32_e32 v123, v18, v123                              // 0000000104E0: 0AF6F712
	v_mul_f32_e32 v124, v18, v124                              // 0000000104E4: 0AF8F912
	v_mul_f32_e32 v125, v18, v125                              // 0000000104E8: 0AFAFB12
	v_mul_f32_e32 v126, v18, v126                              // 0000000104EC: 0AFCFD12
	v_mul_f32_e32 v127, v18, v127                              // 0000000104F0: 0AFEFF12
	buffer_load_dwordx4 a[16:19], v24, s[16:19], 0 offen       // 0000000104F4: E05C1000 80841018
	v_mul_f32_dpp v112, v248, v112 quad_perm:[0,0,0,0] row_mask:0xf bank_mask:0xf// 0000000104FC: 0AE0E0FA FF0000F8
	v_mul_f32_dpp v113, v248, v113 quad_perm:[1,1,1,1] row_mask:0xf bank_mask:0xf// 000000010504: 0AE2E2FA FF0055F8
	v_mul_f32_dpp v114, v248, v114 quad_perm:[2,2,2,2] row_mask:0xf bank_mask:0xf// 00000001050C: 0AE4E4FA FF00AAF8
	v_mul_f32_dpp v115, v248, v115 quad_perm:[3,3,3,3] row_mask:0xf bank_mask:0xf// 000000010514: 0AE6E6FA FF00FFF8
	v_mul_f32_dpp v116, v249, v116 quad_perm:[0,0,0,0] row_mask:0xf bank_mask:0xf// 00000001051C: 0AE8E8FA FF0000F9
	v_mul_f32_dpp v117, v249, v117 quad_perm:[1,1,1,1] row_mask:0xf bank_mask:0xf// 000000010524: 0AEAEAFA FF0055F9
	v_mul_f32_dpp v118, v249, v118 quad_perm:[2,2,2,2] row_mask:0xf bank_mask:0xf// 00000001052C: 0AECECFA FF00AAF9
	v_mul_f32_dpp v119, v249, v119 quad_perm:[3,3,3,3] row_mask:0xf bank_mask:0xf// 000000010534: 0AEEEEFA FF00FFF9
	v_mul_f32_dpp v120, v250, v120 quad_perm:[0,0,0,0] row_mask:0xf bank_mask:0xf// 00000001053C: 0AF0F0FA FF0000FA
	v_mul_f32_dpp v121, v250, v121 quad_perm:[1,1,1,1] row_mask:0xf bank_mask:0xf// 000000010544: 0AF2F2FA FF0055FA
	v_mul_f32_dpp v122, v250, v122 quad_perm:[2,2,2,2] row_mask:0xf bank_mask:0xf// 00000001054C: 0AF4F4FA FF00AAFA
	v_mul_f32_dpp v123, v250, v123 quad_perm:[3,3,3,3] row_mask:0xf bank_mask:0xf// 000000010554: 0AF6F6FA FF00FFFA
	v_mul_f32_dpp v124, v251, v124 quad_perm:[0,0,0,0] row_mask:0xf bank_mask:0xf// 00000001055C: 0AF8F8FA FF0000FB
	v_mul_f32_dpp v125, v251, v125 quad_perm:[1,1,1,1] row_mask:0xf bank_mask:0xf// 000000010564: 0AFAFAFA FF0055FB
	v_mul_f32_dpp v126, v251, v126 quad_perm:[2,2,2,2] row_mask:0xf bank_mask:0xf// 00000001056C: 0AFCFCFA FF00AAFB
	v_mul_f32_dpp v127, v251, v127 quad_perm:[3,3,3,3] row_mask:0xf bank_mask:0xf// 000000010574: 0AFEFEFA FF00FFFB
	buffer_load_dwordx4 a[20:23], v24, s[16:19], 0 offen offset:1024// 00000001057C: E05C1400 80841418
	v_mov_b32_e32 v48, v112                                    // 000000010584: 7E600370
	v_max3_f32 v48, v112, v113, v48                            // 000000010588: D1D30030 04C2E370
	v_max3_f32 v48, v114, v115, v48                            // 000000010590: D1D30030 04C2E772
	v_max3_f32 v48, v116, v117, v48                            // 000000010598: D1D30030 04C2EB74
	v_max3_f32 v48, v118, v119, v48                            // 0000000105A0: D1D30030 04C2EF76
	v_max3_f32 v48, v120, v121, v48                            // 0000000105A8: D1D30030 04C2F378
	v_max3_f32 v48, v122, v123, v48                            // 0000000105B0: D1D30030 04C2F77A
	v_max3_f32 v48, v124, v125, v48                            // 0000000105B8: D1D30030 04C2FB7C
	v_max3_f32 v48, v126, v127, v48                            // 0000000105C0: D1D30030 04C2FF7E
	ds_write_b32 v8, v48 offset:16896                          // 0000000105C8: D81A4200 00003008
	buffer_load_dwordx4 a[24:27], v25, s[16:19], 0 offen       // 0000000105D0: E05C1000 80841819
	v_mul_u32_u24_dpp v64, v16, v54 row_newbcast:1 row_mask:0xf bank_mask:0xf// 0000000105D8: 10806CFA FF015110
	v_mul_u32_u24_dpp v65, v16, v54 row_newbcast:5 row_mask:0xf bank_mask:0xf// 0000000105E0: 10826CFA FF015510
	v_mul_u32_u24_dpp v66, v16, v54 row_newbcast:9 row_mask:0xf bank_mask:0xf// 0000000105E8: 10846CFA FF015910
	v_mul_u32_u24_dpp v67, v16, v54 row_newbcast:13 row_mask:0xf bank_mask:0xf// 0000000105F0: 10866CFA FF015D10
	v_add_u32_e32 v30, v64, v6                                 // 0000000105F8: 683C0D40
	v_add_u32_e32 v31, v65, v6                                 // 0000000105FC: 683E0D41
	v_add_u32_e32 v32, v66, v6                                 // 000000010600: 68400D42
	v_add_u32_e32 v33, v67, v6                                 // 000000010604: 68420D43
	v_mul_f32_e32 v208, v49, v208                              // 000000010608: 0BA1A131
	v_mul_f32_e32 v209, v49, v209                              // 00000001060C: 0BA3A331
	v_mul_f32_e32 v210, v49, v210                              // 000000010610: 0BA5A531
	v_mul_f32_e32 v211, v49, v211                              // 000000010614: 0BA7A731
	v_mul_f32_e32 v212, v49, v212                              // 000000010618: 0BA9A931
	v_mul_f32_e32 v213, v49, v213                              // 00000001061C: 0BABAB31
	v_mul_f32_e32 v214, v49, v214                              // 000000010620: 0BADAD31
	v_mul_f32_e32 v215, v49, v215                              // 000000010624: 0BAFAF31
	s_waitcnt lgkmcnt(0)                                       // 000000010628: BF8CC07F
	s_barrier                                                  // 00000001062C: BF8A0000
	ds_read_b32 v64, v7 offset:16896                           // 000000010630: D86C4200 40000007
	ds_read_b32 v65, v7 offset:16960                           // 000000010638: D86C4240 41000007
	ds_read_b32 v66, v7 offset:17024                           // 000000010640: D86C4280 42000007
	ds_read_b32 v67, v7 offset:17088                           // 000000010648: D86C42C0 43000007
	ds_read_b32 v68, v7 offset:17152                           // 000000010650: D86C4300 44000007
	ds_read_b32 v69, v7 offset:17216                           // 000000010658: D86C4340 45000007
	ds_read_b32 v70, v7 offset:17280                           // 000000010660: D86C4380 46000007
	ds_read_b32 v71, v7 offset:17344                           // 000000010668: D86C43C0 47000007
	ds_read_b32 v72, v7 offset:17408                           // 000000010670: D86C4400 48000007
	ds_read_b32 v73, v7 offset:17472                           // 000000010678: D86C4440 49000007
	ds_read_b32 v74, v7 offset:17536                           // 000000010680: D86C4480 4A000007
	ds_read_b32 v75, v7 offset:17600                           // 000000010688: D86C44C0 4B000007
	ds_read_b32 v76, v7 offset:17664                           // 000000010690: D86C4500 4C000007
	ds_read_b32 v77, v7 offset:17728                           // 000000010698: D86C4540 4D000007
	ds_read_b32 v78, v7 offset:17792                           // 0000000106A0: D86C4580 4E000007
	ds_read_b32 v79, v7 offset:17856                           // 0000000106A8: D86C45C0 4F000007
	buffer_load_dwordx4 a[28:31], v25, s[16:19], 0 offen offset:1024// 0000000106B0: E05C1400 80841C19
	v_mul_f32_e32 v176, v44, v176                              // 0000000106B8: 0B61612C
	v_mul_f32_e32 v177, v44, v177                              // 0000000106BC: 0B63632C
	v_mul_f32_e32 v178, v44, v178                              // 0000000106C0: 0B65652C
	v_mul_f32_e32 v179, v44, v179                              // 0000000106C4: 0B67672C
	v_mul_f32_e32 v180, v44, v180                              // 0000000106C8: 0B69692C
	v_mul_f32_e32 v181, v44, v181                              // 0000000106CC: 0B6B6B2C
	v_mul_f32_e32 v182, v44, v182                              // 0000000106D0: 0B6D6D2C
	v_mul_f32_e32 v183, v44, v183                              // 0000000106D4: 0B6F6F2C
	s_waitcnt lgkmcnt(0)                                       // 0000000106D8: BF8CC07F
	v_max3_f32 v48, v64, v65, v48                              // 0000000106DC: D1D30030 04C28340
	v_max3_f32 v48, v66, v67, v48                              // 0000000106E4: D1D30030 04C28742
	v_max3_f32 v48, v68, v69, v48                              // 0000000106EC: D1D30030 04C28B44
	v_max3_f32 v48, v70, v71, v48                              // 0000000106F4: D1D30030 04C28F46
	v_max3_f32 v48, v72, v73, v48                              // 0000000106FC: D1D30030 04C29348
	v_max3_f32 v48, v74, v75, v48                              // 000000010704: D1D30030 04C2974A
	v_max3_f32 v48, v76, v77, v48                              // 00000001070C: D1D30030 04C29B4C
	v_max3_f32 v48, v78, v79, v48                              // 000000010714: D1D30030 04C29F4E
	buffer_load_dwordx4 a[64:67], v30, s[20:23], 0 offen       // 00000001071C: E05C1000 8085401E
	v_mov_b32_e32 v64, 0xff800000                              // 000000010724: 7E8002FF FF800000
	v_cmp_eq_u32_e64 s[40:41], v64, v11                        // 00000001072C: D0CA0028 00021740
	s_nop 1                                                    // 000000010734: BF800001
	v_max_f32_e32 v15, v48, v11                                // 000000010738: 161E1730
	v_mul_f32_e32 v53, s64, v15                                // 00000001073C: 0A6A1E40
	v_fma_f32 v112, v112, s64, -v53                            // 000000010740: D1CB0070 84D48170
	v_fma_f32 v113, v113, s64, -v53                            // 000000010748: D1CB0071 84D48171
	v_fma_f32 v114, v114, s64, -v53                            // 000000010750: D1CB0072 84D48172
	v_fma_f32 v115, v115, s64, -v53                            // 000000010758: D1CB0073 84D48173
	v_fma_f32 v116, v116, s64, -v53                            // 000000010760: D1CB0074 84D48174
	v_fma_f32 v117, v117, s64, -v53                            // 000000010768: D1CB0075 84D48175
	v_fma_f32 v118, v118, s64, -v53                            // 000000010770: D1CB0076 84D48176
	v_fma_f32 v119, v119, s64, -v53                            // 000000010778: D1CB0077 84D48177
	v_fma_f32 v120, v120, s64, -v53                            // 000000010780: D1CB0078 84D48178
	v_fma_f32 v121, v121, s64, -v53                            // 000000010788: D1CB0079 84D48179
	v_fma_f32 v122, v122, s64, -v53                            // 000000010790: D1CB007A 84D4817A
	v_fma_f32 v123, v123, s64, -v53                            // 000000010798: D1CB007B 84D4817B
	v_fma_f32 v124, v124, s64, -v53                            // 0000000107A0: D1CB007C 84D4817C
	v_fma_f32 v125, v125, s64, -v53                            // 0000000107A8: D1CB007D 84D4817D
	v_fma_f32 v126, v126, s64, -v53                            // 0000000107B0: D1CB007E 84D4817E
	v_fma_f32 v127, v127, s64, -v53                            // 0000000107B8: D1CB007F 84D4817F
	buffer_load_dwordx4 a[68:71], v31, s[20:23], 0 offen       // 0000000107C0: E05C1000 8085441F
	v_exp_f32_e32 v112, v112                                   // 0000000107C8: 7EE04170
	v_exp_f32_e32 v113, v113                                   // 0000000107CC: 7EE24171
	v_exp_f32_e32 v114, v114                                   // 0000000107D0: 7EE44172
	v_exp_f32_e32 v115, v115                                   // 0000000107D4: 7EE64173
	v_exp_f32_e32 v116, v116                                   // 0000000107D8: 7EE84174
	v_exp_f32_e32 v117, v117                                   // 0000000107DC: 7EEA4175
	v_exp_f32_e32 v118, v118                                   // 0000000107E0: 7EEC4176
	v_exp_f32_e32 v119, v119                                   // 0000000107E4: 7EEE4177
	v_exp_f32_e32 v120, v120                                   // 0000000107E8: 7EF04178
	v_exp_f32_e32 v121, v121                                   // 0000000107EC: 7EF24179
	v_exp_f32_e32 v122, v122                                   // 0000000107F0: 7EF4417A
	v_exp_f32_e32 v123, v123                                   // 0000000107F4: 7EF6417B
	v_exp_f32_e32 v124, v124                                   // 0000000107F8: 7EF8417C
	v_exp_f32_e32 v125, v125                                   // 0000000107FC: 7EFA417D
	v_exp_f32_e32 v126, v126                                   // 000000010800: 7EFC417E
	v_exp_f32_e32 v127, v127                                   // 000000010804: 7EFE417F
	buffer_load_dwordx4 a[72:75], v32, s[20:23], 0 offen       // 000000010808: E05C1000 80854820
	v_mul_f32_dpp v240, v252, v112 quad_perm:[0,0,0,0] row_mask:0xf bank_mask:0xf// 000000010810: 0BE0E0FA FF0000FC
	v_mul_f32_dpp v241, v252, v113 quad_perm:[1,1,1,1] row_mask:0xf bank_mask:0xf// 000000010818: 0BE2E2FA FF0055FC
	v_mul_f32_dpp v242, v252, v114 quad_perm:[2,2,2,2] row_mask:0xf bank_mask:0xf// 000000010820: 0BE4E4FA FF00AAFC
	v_mul_f32_dpp v243, v252, v115 quad_perm:[3,3,3,3] row_mask:0xf bank_mask:0xf// 000000010828: 0BE6E6FA FF00FFFC
	v_mul_f32_dpp v244, v253, v116 quad_perm:[0,0,0,0] row_mask:0xf bank_mask:0xf// 000000010830: 0BE8E8FA FF0000FD
	v_mul_f32_dpp v245, v253, v117 quad_perm:[1,1,1,1] row_mask:0xf bank_mask:0xf// 000000010838: 0BEAEAFA FF0055FD
	v_mul_f32_dpp v246, v253, v118 quad_perm:[2,2,2,2] row_mask:0xf bank_mask:0xf// 000000010840: 0BECECFA FF00AAFD
	v_mul_f32_dpp v247, v253, v119 quad_perm:[3,3,3,3] row_mask:0xf bank_mask:0xf// 000000010848: 0BEEEEFA FF00FFFD
	v_mul_f32_dpp v248, v254, v120 quad_perm:[0,0,0,0] row_mask:0xf bank_mask:0xf// 000000010850: 0BF0F0FA FF0000FE
	v_mul_f32_dpp v249, v254, v121 quad_perm:[1,1,1,1] row_mask:0xf bank_mask:0xf// 000000010858: 0BF2F2FA FF0055FE
	v_mul_f32_dpp v250, v254, v122 quad_perm:[2,2,2,2] row_mask:0xf bank_mask:0xf// 000000010860: 0BF4F4FA FF00AAFE
	v_mul_f32_dpp v251, v254, v123 quad_perm:[3,3,3,3] row_mask:0xf bank_mask:0xf// 000000010868: 0BF6F6FA FF00FFFE
	v_mul_f32_dpp v252, v255, v124 quad_perm:[0,0,0,0] row_mask:0xf bank_mask:0xf// 000000010870: 0BF8F8FA FF0000FF
	v_mul_f32_dpp v253, v255, v125 quad_perm:[1,1,1,1] row_mask:0xf bank_mask:0xf// 000000010878: 0BFAFAFA FF0055FF
	v_mul_f32_dpp v254, v255, v126 quad_perm:[2,2,2,2] row_mask:0xf bank_mask:0xf// 000000010880: 0BFCFCFA FF00AAFF
	v_mul_f32_dpp v255, v255, v127 quad_perm:[3,3,3,3] row_mask:0xf bank_mask:0xf// 000000010888: 0BFEFEFA FF00FFFF
	v_mov_b32_e32 v48, 0x358637bd                              // 000000010890: 7E6002FF 358637BD
	v_max3_f32 v48, |v240|, |v241|, v48                        // 000000010898: D1D30330 04C3E3F0
	v_max3_f32 v48, |v242|, |v243|, v48                        // 0000000108A0: D1D30330 04C3E7F2
	v_max3_f32 v48, |v244|, |v245|, v48                        // 0000000108A8: D1D30330 04C3EBF4
	v_max3_f32 v48, |v246|, |v247|, v48                        // 0000000108B0: D1D30330 04C3EFF6
	v_max3_f32 v48, |v248|, |v249|, v48                        // 0000000108B8: D1D30330 04C3F3F8
	v_max3_f32 v48, |v250|, |v251|, v48                        // 0000000108C0: D1D30330 04C3F7FA
	v_max3_f32 v48, |v252|, |v253|, v48                        // 0000000108C8: D1D30330 04C3FBFC
	v_max3_f32 v48, |v254|, |v255|, v48                        // 0000000108D0: D1D30330 04C3FFFE
	buffer_load_dwordx4 a[76:79], v33, s[20:23], 0 offen       // 0000000108D8: E05C1000 80854C21
	ds_write_b32 v8, v48 offset:20992                          // 0000000108E0: D81A5200 00003008
	v_sub_f32_e32 v49, v11, v15                                // 0000000108E8: 04621F0B
	v_cndmask_b32_e64 v49, v49, 0, s[40:41]                    // 0000000108EC: D1000031 00A10131
	v_mov_b32_e32 v11, v15                                     // 0000000108F4: 7E16030F
	v_mul_f32_e32 v49, s64, v49                                // 0000000108F8: 0A626240
	v_exp_f32_e32 v49, v49                                     // 0000000108FC: 7E624131
	s_waitcnt lgkmcnt(0)                                       // 000000010900: BF8CC07F
	s_barrier                                                  // 000000010904: BF8A0000
	ds_read_b32 v64, v7 offset:20992                           // 000000010908: D86C5200 40000007
	ds_read_b32 v65, v7 offset:21056                           // 000000010910: D86C5240 41000007
	ds_read_b32 v66, v7 offset:21120                           // 000000010918: D86C5280 42000007
	ds_read_b32 v67, v7 offset:21184                           // 000000010920: D86C52C0 43000007
	ds_read_b32 v68, v7 offset:21248                           // 000000010928: D86C5300 44000007
	ds_read_b32 v69, v7 offset:21312                           // 000000010930: D86C5340 45000007
	ds_read_b32 v70, v7 offset:21376                           // 000000010938: D86C5380 46000007
	ds_read_b32 v71, v7 offset:21440                           // 000000010940: D86C53C0 47000007
	ds_read_b32 v72, v7 offset:21504                           // 000000010948: D86C5400 48000007
	ds_read_b32 v73, v7 offset:21568                           // 000000010950: D86C5440 49000007
	ds_read_b32 v74, v7 offset:21632                           // 000000010958: D86C5480 4A000007
	ds_read_b32 v75, v7 offset:21696                           // 000000010960: D86C54C0 4B000007
	ds_read_b32 v76, v7 offset:21760                           // 000000010968: D86C5500 4C000007
	ds_read_b32 v77, v7 offset:21824                           // 000000010970: D86C5540 4D000007
	ds_read_b32 v78, v7 offset:21888                           // 000000010978: D86C5580 4E000007
	ds_read_b32 v79, v7 offset:21952                           // 000000010980: D86C55C0 4F000007
	v_mul_f32_e32 v38, v49, v38                                // 000000010988: 0A4C4D31
	v_mov_b32_e32 v15, v112                                    // 00000001098C: 7E1E0370
	v_add_f32_e32 v15, v113, v15                               // 000000010990: 021E1F71
	v_add_f32_e32 v15, v114, v15                               // 000000010994: 021E1F72
	v_add_f32_e32 v15, v115, v15                               // 000000010998: 021E1F73
	v_add_f32_e32 v15, v116, v15                               // 00000001099C: 021E1F74
	v_add_f32_e32 v15, v117, v15                               // 0000000109A0: 021E1F75
	v_add_f32_e32 v15, v118, v15                               // 0000000109A4: 021E1F76
	v_add_f32_e32 v15, v119, v15                               // 0000000109A8: 021E1F77
	v_add_f32_e32 v15, v120, v15                               // 0000000109AC: 021E1F78
	v_add_f32_e32 v15, v121, v15                               // 0000000109B0: 021E1F79
	v_add_f32_e32 v15, v122, v15                               // 0000000109B4: 021E1F7A
	v_add_f32_e32 v15, v123, v15                               // 0000000109B8: 021E1F7B
	v_add_f32_e32 v15, v124, v15                               // 0000000109BC: 021E1F7C
	v_add_f32_e32 v15, v125, v15                               // 0000000109C0: 021E1F7D
	v_add_f32_e32 v15, v126, v15                               // 0000000109C4: 021E1F7E
	v_add_f32_e32 v15, v127, v15                               // 0000000109C8: 021E1F7F
	v_add_f32_e32 v38, v15, v38                                // 0000000109CC: 024C4D0F
	s_waitcnt lgkmcnt(0)                                       // 0000000109D0: BF8CC07F
	v_max3_f32 v48, |v64|, |v65|, v48                          // 0000000109D4: D1D30330 04C28340
	v_max3_f32 v48, |v66|, |v67|, v48                          // 0000000109DC: D1D30330 04C28742
	v_max3_f32 v48, |v68|, |v69|, v48                          // 0000000109E4: D1D30330 04C28B44
	v_max3_f32 v48, |v70|, |v71|, v48                          // 0000000109EC: D1D30330 04C28F46
	v_max3_f32 v48, |v72|, |v73|, v48                          // 0000000109F4: D1D30330 04C29348
	v_max3_f32 v48, |v74|, |v75|, v48                          // 0000000109FC: D1D30330 04C2974A
	v_max3_f32 v48, |v76|, |v77|, v48                          // 000000010A04: D1D30330 04C29B4C
	v_max3_f32 v48, |v78|, |v79|, v48                          // 000000010A0C: D1D30330 04C29F4E
	s_nop 2                                                    // 000000010A14: BF800002
	v_rcp_f32_e32 v48, v48                                     // 000000010A18: 7E604530
	s_nop 1                                                    // 000000010A1C: BF800001
	v_mul_f32_e32 v48, 0x43e00000, v48                         // 000000010A20: 0A6060FF 43E00000
	v_mul_f32_e32 v112, v48, v240                              // 000000010A28: 0AE1E130
	v_mul_f32_e32 v113, v48, v241                              // 000000010A2C: 0AE3E330
	v_mul_f32_e32 v114, v48, v242                              // 000000010A30: 0AE5E530
	v_mul_f32_e32 v115, v48, v243                              // 000000010A34: 0AE7E730
	v_mul_f32_e32 v116, v48, v244                              // 000000010A38: 0AE9E930
	v_mul_f32_e32 v117, v48, v245                              // 000000010A3C: 0AEBEB30
	v_mul_f32_e32 v118, v48, v246                              // 000000010A40: 0AEDED30
	v_mul_f32_e32 v119, v48, v247                              // 000000010A44: 0AEFEF30
	v_mul_f32_e32 v120, v48, v248                              // 000000010A48: 0AF1F130
	v_mul_f32_e32 v121, v48, v249                              // 000000010A4C: 0AF3F330
	v_mul_f32_e32 v122, v48, v250                              // 000000010A50: 0AF5F530
	v_mul_f32_e32 v123, v48, v251                              // 000000010A54: 0AF7F730
	v_mul_f32_e32 v124, v48, v252                              // 000000010A58: 0AF9F930
	v_mul_f32_e32 v125, v48, v253                              // 000000010A5C: 0AFBFB30
	v_mul_f32_e32 v126, v48, v254                              // 000000010A60: 0AFDFD30
	v_mul_f32_e32 v127, v48, v255                              // 000000010A64: 0AFFFF30
	v_cvt_pk_fp8_f32 v112, v112, v113                          // 000000010A68: D2A20070 0002E370
	v_cvt_pk_fp8_f32 v112, v114, v115 op_sel:[0,0,1]           // 000000010A70: D2A24070 0002E772
	v_cvt_pk_fp8_f32 v113, v116, v117                          // 000000010A78: D2A20071 0002EB74
	v_cvt_pk_fp8_f32 v113, v118, v119 op_sel:[0,0,1]           // 000000010A80: D2A24071 0002EF76
	v_cvt_pk_fp8_f32 v114, v120, v121                          // 000000010A88: D2A20072 0002F378
	v_cvt_pk_fp8_f32 v114, v122, v123 op_sel:[0,0,1]           // 000000010A90: D2A24072 0002F77A
	v_cvt_pk_fp8_f32 v115, v124, v125                          // 000000010A98: D2A20073 0002FB7C
	v_cvt_pk_fp8_f32 v115, v126, v127 op_sel:[0,0,1]           // 000000010AA0: D2A24073 0002FF7E
	ds_write_b32 v10, v112 offset:25088                        // 000000010AA8: D81A6200 0000700A
	ds_write_b32 v10, v113 offset:26112                        // 000000010AB0: D81A6600 0000710A
	ds_write_b32 v10, v114 offset:27136                        // 000000010AB8: D81A6A00 0000720A
	ds_write_b32 v10, v115 offset:28160                        // 000000010AC0: D81A6E00 0000730A
	v_add_f32_e32 v208, v208, v176                             // 000000010AC8: 03A161D0
	v_add_f32_e32 v209, v209, v177                             // 000000010ACC: 03A363D1
	v_add_f32_e32 v210, v210, v178                             // 000000010AD0: 03A565D2
	v_add_f32_e32 v211, v211, v179                             // 000000010AD4: 03A767D3
	v_add_f32_e32 v212, v212, v180                             // 000000010AD8: 03A969D4
	v_add_f32_e32 v213, v213, v181                             // 000000010ADC: 03AB6BD5
	v_add_f32_e32 v214, v214, v182                             // 000000010AE0: 03AD6DD6
	v_add_f32_e32 v215, v215, v183                             // 000000010AE4: 03AF6FD7
	v_rcp_f32_e32 v44, v48                                     // 000000010AE8: 7E584530
	s_waitcnt lgkmcnt(0)                                       // 000000010AEC: BF8CC07F
	s_barrier                                                  // 000000010AF0: BF8A0000
	ds_read_b64 v[112:113], v9 offset:25088                    // 000000010AF4: D8EC6200 70000009
	ds_read_b64 v[114:115], v9 offset:25216                    // 000000010AFC: D8EC6280 72000009
	ds_read_b64 v[116:117], v9 offset:26112                    // 000000010B04: D8EC6600 74000009
	ds_read_b64 v[118:119], v9 offset:26240                    // 000000010B0C: D8EC6680 76000009
	ds_read_b64 v[120:121], v9 offset:27136                    // 000000010B14: D8EC6A00 78000009
	ds_read_b64 v[122:123], v9 offset:27264                    // 000000010B1C: D8EC6A80 7A000009
	ds_read_b64 v[124:125], v9 offset:28160                    // 000000010B24: D8EC6E00 7C000009
	ds_read_b64 v[126:127], v9 offset:28288                    // 000000010B2C: D8EC6E80 7E000009
	v_mov_b32_dpp v64, v43 row_shr:4 row_mask:0xf bank_mask:0xf// 000000010B34: 7E8002FA FF01142B
	v_mov_b32_dpp v65, v43 row_shl:4 row_mask:0xf bank_mask:0xf// 000000010B3C: 7E8202FA FF01042B
	v_cndmask_b32_e64 v248, v43, v64, s[44:45]                 // 000000010B44: D10000F8 00B2812B
	v_cndmask_b32_e64 v249, v65, v43, s[44:45]                 // 000000010B4C: D10000F9 00B25741
	v_mov_b32_dpp v64, v248 row_shr:8 row_mask:0xf bank_mask:0xf// 000000010B54: 7E8002FA FF0118F8
	v_mov_b32_dpp v65, v248 row_shl:8 row_mask:0xf bank_mask:0xf// 000000010B5C: 7E8202FA FF0108F8
	v_mov_b32_dpp v66, v249 row_shr:8 row_mask:0xf bank_mask:0xf// 000000010B64: 7E8402FA FF0118F9
	v_mov_b32_dpp v67, v249 row_shl:8 row_mask:0xf bank_mask:0xf// 000000010B6C: 7E8602FA FF0108F9
	v_mov_b32_e32 v68, v248                                    // 000000010B74: 7E8803F8
	v_mov_b32_e32 v69, v249                                    // 000000010B78: 7E8A03F9
	v_cndmask_b32_e64 v248, v68, v64, s[42:43]                 // 000000010B7C: D10000F8 00AA8144
	v_cndmask_b32_e64 v250, v68, v65, s[78:79]                 // 000000010B84: D10000FA 013A8344
	v_cndmask_b32_e64 v249, v69, v66, s[42:43]                 // 000000010B8C: D10000F9 00AA8545
	v_cndmask_b32_e64 v251, v69, v67, s[78:79]                 // 000000010B94: D10000FB 013A8745
	v_mov_b32_dpp v64, v58 row_shr:4 row_mask:0xf bank_mask:0xf// 000000010B9C: 7E8002FA FF01143A
	v_mov_b32_dpp v65, v58 row_shl:4 row_mask:0xf bank_mask:0xf// 000000010BA4: 7E8202FA FF01043A
	v_cndmask_b32_e64 v252, v58, v64, s[44:45]                 // 000000010BAC: D10000FC 00B2813A
	v_cndmask_b32_e64 v253, v65, v58, s[44:45]                 // 000000010BB4: D10000FD 00B27541
	v_mov_b32_dpp v64, v252 row_shr:8 row_mask:0xf bank_mask:0xf// 000000010BBC: 7E8002FA FF0118FC
	v_mov_b32_dpp v65, v252 row_shl:8 row_mask:0xf bank_mask:0xf// 000000010BC4: 7E8202FA FF0108FC
	v_mov_b32_dpp v66, v253 row_shr:8 row_mask:0xf bank_mask:0xf// 000000010BCC: 7E8402FA FF0118FD
	v_mov_b32_dpp v67, v253 row_shl:8 row_mask:0xf bank_mask:0xf// 000000010BD4: 7E8602FA FF0108FD
	v_mov_b32_e32 v68, v252                                    // 000000010BDC: 7E8803FC
	v_mov_b32_e32 v69, v253                                    // 000000010BE0: 7E8A03FD
	v_cndmask_b32_e64 v252, v68, v64, s[42:43]                 // 000000010BE4: D10000FC 00AA8144
	v_cndmask_b32_e64 v254, v68, v65, s[78:79]                 // 000000010BEC: D10000FE 013A8344
	v_cndmask_b32_e64 v253, v69, v66, s[42:43]                 // 000000010BF4: D10000FD 00AA8545
	v_cndmask_b32_e64 v255, v69, v67, s[78:79]                 // 000000010BFC: D10000FF 013A8745
	v_mul_f32_e32 v128, v19, v128                              // 000000010C04: 0B010113
	v_mul_f32_e32 v129, v19, v129                              // 000000010C08: 0B030313
	v_mul_f32_e32 v130, v19, v130                              // 000000010C0C: 0B050513
	v_mul_f32_e32 v131, v19, v131                              // 000000010C10: 0B070713
	v_mul_f32_e32 v132, v19, v132                              // 000000010C14: 0B090913
	v_mul_f32_e32 v133, v19, v133                              // 000000010C18: 0B0B0B13
	v_mul_f32_e32 v134, v19, v134                              // 000000010C1C: 0B0D0D13
	v_mul_f32_e32 v135, v19, v135                              // 000000010C20: 0B0F0F13
	v_mul_f32_e32 v136, v19, v136                              // 000000010C24: 0B111113
	v_mul_f32_e32 v137, v19, v137                              // 000000010C28: 0B131313
	v_mul_f32_e32 v138, v19, v138                              // 000000010C2C: 0B151513
	v_mul_f32_e32 v139, v19, v139                              // 000000010C30: 0B171713
	v_mul_f32_e32 v140, v19, v140                              // 000000010C34: 0B191913
	v_mul_f32_e32 v141, v19, v141                              // 000000010C38: 0B1B1B13
	v_mul_f32_e32 v142, v19, v142                              // 000000010C3C: 0B1D1D13
	v_mul_f32_e32 v143, v19, v143                              // 000000010C40: 0B1F1F13
	v_mul_f32_dpp v128, v248, v128 quad_perm:[0,0,0,0] row_mask:0xf bank_mask:0xf// 000000010C44: 0B0100FA FF0000F8
	v_mul_f32_dpp v129, v248, v129 quad_perm:[1,1,1,1] row_mask:0xf bank_mask:0xf// 000000010C4C: 0B0302FA FF0055F8
	v_mul_f32_dpp v130, v248, v130 quad_perm:[2,2,2,2] row_mask:0xf bank_mask:0xf// 000000010C54: 0B0504FA FF00AAF8
	v_mul_f32_dpp v131, v248, v131 quad_perm:[3,3,3,3] row_mask:0xf bank_mask:0xf// 000000010C5C: 0B0706FA FF00FFF8
	v_mul_f32_dpp v132, v249, v132 quad_perm:[0,0,0,0] row_mask:0xf bank_mask:0xf// 000000010C64: 0B0908FA FF0000F9
	v_mul_f32_dpp v133, v249, v133 quad_perm:[1,1,1,1] row_mask:0xf bank_mask:0xf// 000000010C6C: 0B0B0AFA FF0055F9
	v_mul_f32_dpp v134, v249, v134 quad_perm:[2,2,2,2] row_mask:0xf bank_mask:0xf// 000000010C74: 0B0D0CFA FF00AAF9
	v_mul_f32_dpp v135, v249, v135 quad_perm:[3,3,3,3] row_mask:0xf bank_mask:0xf// 000000010C7C: 0B0F0EFA FF00FFF9
	v_mul_f32_dpp v136, v250, v136 quad_perm:[0,0,0,0] row_mask:0xf bank_mask:0xf// 000000010C84: 0B1110FA FF0000FA
	v_mul_f32_dpp v137, v250, v137 quad_perm:[1,1,1,1] row_mask:0xf bank_mask:0xf// 000000010C8C: 0B1312FA FF0055FA
	v_mul_f32_dpp v138, v250, v138 quad_perm:[2,2,2,2] row_mask:0xf bank_mask:0xf// 000000010C94: 0B1514FA FF00AAFA
	v_mul_f32_dpp v139, v250, v139 quad_perm:[3,3,3,3] row_mask:0xf bank_mask:0xf// 000000010C9C: 0B1716FA FF00FFFA
	v_mul_f32_dpp v140, v251, v140 quad_perm:[0,0,0,0] row_mask:0xf bank_mask:0xf// 000000010CA4: 0B1918FA FF0000FB
	v_mul_f32_dpp v141, v251, v141 quad_perm:[1,1,1,1] row_mask:0xf bank_mask:0xf// 000000010CAC: 0B1B1AFA FF0055FB
	v_mul_f32_dpp v142, v251, v142 quad_perm:[2,2,2,2] row_mask:0xf bank_mask:0xf// 000000010CB4: 0B1D1CFA FF00AAFB
	v_mul_f32_dpp v143, v251, v143 quad_perm:[3,3,3,3] row_mask:0xf bank_mask:0xf// 000000010CBC: 0B1F1EFA FF00FFFB
	v_mov_b32_e32 v48, v128                                    // 000000010CC4: 7E600380
	v_max3_f32 v48, v128, v129, v48                            // 000000010CC8: D1D30030 04C30380
	v_max3_f32 v48, v130, v131, v48                            // 000000010CD0: D1D30030 04C30782
	v_max3_f32 v48, v132, v133, v48                            // 000000010CD8: D1D30030 04C30B84
	v_max3_f32 v48, v134, v135, v48                            // 000000010CE0: D1D30030 04C30F86
	v_max3_f32 v48, v136, v137, v48                            // 000000010CE8: D1D30030 04C31388
	v_max3_f32 v48, v138, v139, v48                            // 000000010CF0: D1D30030 04C3178A
	v_max3_f32 v48, v140, v141, v48                            // 000000010CF8: D1D30030 04C31B8C
	v_max3_f32 v48, v142, v143, v48                            // 000000010D00: D1D30030 04C31F8E
	ds_write_b32 v8, v48 offset:16896                          // 000000010D08: D81A4200 00003008
	v_mul_f32_e32 v216, v50, v216                              // 000000010D10: 0BB1B132
	v_mul_f32_e32 v217, v50, v217                              // 000000010D14: 0BB3B332
	v_mul_f32_e32 v218, v50, v218                              // 000000010D18: 0BB5B532
	v_mul_f32_e32 v219, v50, v219                              // 000000010D1C: 0BB7B732
	v_mul_f32_e32 v220, v50, v220                              // 000000010D20: 0BB9B932
	v_mul_f32_e32 v221, v50, v221                              // 000000010D24: 0BBBBB32
	v_mul_f32_e32 v222, v50, v222                              // 000000010D28: 0BBDBD32
	v_mul_f32_e32 v223, v50, v223                              // 000000010D2C: 0BBFBF32
	s_waitcnt lgkmcnt(0)                                       // 000000010D30: BF8CC07F
	s_barrier                                                  // 000000010D34: BF8A0000
	ds_read_b32 v64, v7 offset:16896                           // 000000010D38: D86C4200 40000007
	ds_read_b32 v65, v7 offset:16960                           // 000000010D40: D86C4240 41000007
	ds_read_b32 v66, v7 offset:17024                           // 000000010D48: D86C4280 42000007
	ds_read_b32 v67, v7 offset:17088                           // 000000010D50: D86C42C0 43000007
	ds_read_b32 v68, v7 offset:17152                           // 000000010D58: D86C4300 44000007
	ds_read_b32 v69, v7 offset:17216                           // 000000010D60: D86C4340 45000007
	ds_read_b32 v70, v7 offset:17280                           // 000000010D68: D86C4380 46000007
	ds_read_b32 v71, v7 offset:17344                           // 000000010D70: D86C43C0 47000007
	ds_read_b32 v72, v7 offset:17408                           // 000000010D78: D86C4400 48000007
	ds_read_b32 v73, v7 offset:17472                           // 000000010D80: D86C4440 49000007
	ds_read_b32 v74, v7 offset:17536                           // 000000010D88: D86C4480 4A000007
	ds_read_b32 v75, v7 offset:17600                           // 000000010D90: D86C44C0 4B000007
	ds_read_b32 v76, v7 offset:17664                           // 000000010D98: D86C4500 4C000007
	ds_read_b32 v77, v7 offset:17728                           // 000000010DA0: D86C4540 4D000007
	ds_read_b32 v78, v7 offset:17792                           // 000000010DA8: D86C4580 4E000007
	ds_read_b32 v79, v7 offset:17856                           // 000000010DB0: D86C45C0 4F000007
	v_mul_f32_e32 v184, v45, v184                              // 000000010DB8: 0B71712D
	v_mul_f32_e32 v185, v45, v185                              // 000000010DBC: 0B73732D
	v_mul_f32_e32 v186, v45, v186                              // 000000010DC0: 0B75752D
	v_mul_f32_e32 v187, v45, v187                              // 000000010DC4: 0B77772D
	v_mul_f32_e32 v188, v45, v188                              // 000000010DC8: 0B79792D
	v_mul_f32_e32 v189, v45, v189                              // 000000010DCC: 0B7B7B2D
	v_mul_f32_e32 v190, v45, v190                              // 000000010DD0: 0B7D7D2D
	v_mul_f32_e32 v191, v45, v191                              // 000000010DD4: 0B7F7F2D
	s_waitcnt lgkmcnt(0)                                       // 000000010DD8: BF8CC07F
	v_max3_f32 v48, v64, v65, v48                              // 000000010DDC: D1D30030 04C28340
	v_max3_f32 v48, v66, v67, v48                              // 000000010DE4: D1D30030 04C28742
	v_max3_f32 v48, v68, v69, v48                              // 000000010DEC: D1D30030 04C28B44
	v_max3_f32 v48, v70, v71, v48                              // 000000010DF4: D1D30030 04C28F46
	v_max3_f32 v48, v72, v73, v48                              // 000000010DFC: D1D30030 04C29348
	v_max3_f32 v48, v74, v75, v48                              // 000000010E04: D1D30030 04C2974A
	v_max3_f32 v48, v76, v77, v48                              // 000000010E0C: D1D30030 04C29B4C
	v_max3_f32 v48, v78, v79, v48                              // 000000010E14: D1D30030 04C29F4E
	v_mov_b32_e32 v64, 0xff800000                              // 000000010E1C: 7E8002FF FF800000
	v_cmp_eq_u32_e64 s[40:41], v64, v12                        // 000000010E24: D0CA0028 00021940
	s_nop 1                                                    // 000000010E2C: BF800001
	v_max_f32_e32 v15, v48, v12                                // 000000010E30: 161E1930
	v_mul_f32_e32 v53, s64, v15                                // 000000010E34: 0A6A1E40
	v_fma_f32 v128, v128, s64, -v53                            // 000000010E38: D1CB0080 84D48180
	v_fma_f32 v129, v129, s64, -v53                            // 000000010E40: D1CB0081 84D48181
	v_fma_f32 v130, v130, s64, -v53                            // 000000010E48: D1CB0082 84D48182
	v_fma_f32 v131, v131, s64, -v53                            // 000000010E50: D1CB0083 84D48183
	v_fma_f32 v132, v132, s64, -v53                            // 000000010E58: D1CB0084 84D48184
	v_fma_f32 v133, v133, s64, -v53                            // 000000010E60: D1CB0085 84D48185
	v_fma_f32 v134, v134, s64, -v53                            // 000000010E68: D1CB0086 84D48186
	v_fma_f32 v135, v135, s64, -v53                            // 000000010E70: D1CB0087 84D48187
	v_fma_f32 v136, v136, s64, -v53                            // 000000010E78: D1CB0088 84D48188
	v_fma_f32 v137, v137, s64, -v53                            // 000000010E80: D1CB0089 84D48189
	v_fma_f32 v138, v138, s64, -v53                            // 000000010E88: D1CB008A 84D4818A
	v_fma_f32 v139, v139, s64, -v53                            // 000000010E90: D1CB008B 84D4818B
	v_fma_f32 v140, v140, s64, -v53                            // 000000010E98: D1CB008C 84D4818C
	v_fma_f32 v141, v141, s64, -v53                            // 000000010EA0: D1CB008D 84D4818D
	v_fma_f32 v142, v142, s64, -v53                            // 000000010EA8: D1CB008E 84D4818E
	v_fma_f32 v143, v143, s64, -v53                            // 000000010EB0: D1CB008F 84D4818F
	v_exp_f32_e32 v128, v128                                   // 000000010EB8: 7F004180
	v_exp_f32_e32 v129, v129                                   // 000000010EBC: 7F024181
	v_exp_f32_e32 v130, v130                                   // 000000010EC0: 7F044182
	v_exp_f32_e32 v131, v131                                   // 000000010EC4: 7F064183
	v_exp_f32_e32 v132, v132                                   // 000000010EC8: 7F084184
	v_exp_f32_e32 v133, v133                                   // 000000010ECC: 7F0A4185
	v_exp_f32_e32 v134, v134                                   // 000000010ED0: 7F0C4186
	v_exp_f32_e32 v135, v135                                   // 000000010ED4: 7F0E4187
	v_exp_f32_e32 v136, v136                                   // 000000010ED8: 7F104188
	v_exp_f32_e32 v137, v137                                   // 000000010EDC: 7F124189
	v_exp_f32_e32 v138, v138                                   // 000000010EE0: 7F14418A
	v_exp_f32_e32 v139, v139                                   // 000000010EE4: 7F16418B
	v_exp_f32_e32 v140, v140                                   // 000000010EE8: 7F18418C
	v_exp_f32_e32 v141, v141                                   // 000000010EEC: 7F1A418D
	v_exp_f32_e32 v142, v142                                   // 000000010EF0: 7F1C418E
	v_exp_f32_e32 v143, v143                                   // 000000010EF4: 7F1E418F
	v_mul_f32_dpp v240, v252, v128 quad_perm:[0,0,0,0] row_mask:0xf bank_mask:0xf// 000000010EF8: 0BE100FA FF0000FC
	v_mul_f32_dpp v241, v252, v129 quad_perm:[1,1,1,1] row_mask:0xf bank_mask:0xf// 000000010F00: 0BE302FA FF0055FC
	v_mul_f32_dpp v242, v252, v130 quad_perm:[2,2,2,2] row_mask:0xf bank_mask:0xf// 000000010F08: 0BE504FA FF00AAFC
	v_mul_f32_dpp v243, v252, v131 quad_perm:[3,3,3,3] row_mask:0xf bank_mask:0xf// 000000010F10: 0BE706FA FF00FFFC
	v_mul_f32_dpp v244, v253, v132 quad_perm:[0,0,0,0] row_mask:0xf bank_mask:0xf// 000000010F18: 0BE908FA FF0000FD
	v_mul_f32_dpp v245, v253, v133 quad_perm:[1,1,1,1] row_mask:0xf bank_mask:0xf// 000000010F20: 0BEB0AFA FF0055FD
	v_mul_f32_dpp v246, v253, v134 quad_perm:[2,2,2,2] row_mask:0xf bank_mask:0xf// 000000010F28: 0BED0CFA FF00AAFD
	v_mul_f32_dpp v247, v253, v135 quad_perm:[3,3,3,3] row_mask:0xf bank_mask:0xf// 000000010F30: 0BEF0EFA FF00FFFD
	v_mul_f32_dpp v248, v254, v136 quad_perm:[0,0,0,0] row_mask:0xf bank_mask:0xf// 000000010F38: 0BF110FA FF0000FE
	v_mul_f32_dpp v249, v254, v137 quad_perm:[1,1,1,1] row_mask:0xf bank_mask:0xf// 000000010F40: 0BF312FA FF0055FE
	v_mul_f32_dpp v250, v254, v138 quad_perm:[2,2,2,2] row_mask:0xf bank_mask:0xf// 000000010F48: 0BF514FA FF00AAFE
	v_mul_f32_dpp v251, v254, v139 quad_perm:[3,3,3,3] row_mask:0xf bank_mask:0xf// 000000010F50: 0BF716FA FF00FFFE
	v_mul_f32_dpp v252, v255, v140 quad_perm:[0,0,0,0] row_mask:0xf bank_mask:0xf// 000000010F58: 0BF918FA FF0000FF
	v_mul_f32_dpp v253, v255, v141 quad_perm:[1,1,1,1] row_mask:0xf bank_mask:0xf// 000000010F60: 0BFB1AFA FF0055FF
	v_mul_f32_dpp v254, v255, v142 quad_perm:[2,2,2,2] row_mask:0xf bank_mask:0xf// 000000010F68: 0BFD1CFA FF00AAFF
	v_mul_f32_dpp v255, v255, v143 quad_perm:[3,3,3,3] row_mask:0xf bank_mask:0xf// 000000010F70: 0BFF1EFA FF00FFFF
	v_mov_b32_e32 v48, 0x358637bd                              // 000000010F78: 7E6002FF 358637BD
	v_max3_f32 v48, |v240|, |v241|, v48                        // 000000010F80: D1D30330 04C3E3F0
	v_max3_f32 v48, |v242|, |v243|, v48                        // 000000010F88: D1D30330 04C3E7F2
	v_max3_f32 v48, |v244|, |v245|, v48                        // 000000010F90: D1D30330 04C3EBF4
	v_max3_f32 v48, |v246|, |v247|, v48                        // 000000010F98: D1D30330 04C3EFF6
	v_max3_f32 v48, |v248|, |v249|, v48                        // 000000010FA0: D1D30330 04C3F3F8
	v_max3_f32 v48, |v250|, |v251|, v48                        // 000000010FA8: D1D30330 04C3F7FA
	v_max3_f32 v48, |v252|, |v253|, v48                        // 000000010FB0: D1D30330 04C3FBFC
	v_max3_f32 v48, |v254|, |v255|, v48                        // 000000010FB8: D1D30330 04C3FFFE
	ds_write_b32 v8, v48 offset:20992                          // 000000010FC0: D81A5200 00003008
	v_sub_f32_e32 v50, v12, v15                                // 000000010FC8: 04641F0C
	v_cndmask_b32_e64 v50, v50, 0, s[40:41]                    // 000000010FCC: D1000032 00A10132
	v_mov_b32_e32 v12, v15                                     // 000000010FD4: 7E18030F
	v_mul_f32_e32 v50, s64, v50                                // 000000010FD8: 0A646440
	v_exp_f32_e32 v50, v50                                     // 000000010FDC: 7E644132
	s_waitcnt lgkmcnt(0)                                       // 000000010FE0: BF8CC07F
	s_barrier                                                  // 000000010FE4: BF8A0000
	ds_read_b32 v64, v7 offset:20992                           // 000000010FE8: D86C5200 40000007
	ds_read_b32 v65, v7 offset:21056                           // 000000010FF0: D86C5240 41000007
	ds_read_b32 v66, v7 offset:21120                           // 000000010FF8: D86C5280 42000007
	ds_read_b32 v67, v7 offset:21184                           // 000000011000: D86C52C0 43000007
	ds_read_b32 v68, v7 offset:21248                           // 000000011008: D86C5300 44000007
	ds_read_b32 v69, v7 offset:21312                           // 000000011010: D86C5340 45000007
	ds_read_b32 v70, v7 offset:21376                           // 000000011018: D86C5380 46000007
	ds_read_b32 v71, v7 offset:21440                           // 000000011020: D86C53C0 47000007
	ds_read_b32 v72, v7 offset:21504                           // 000000011028: D86C5400 48000007
	ds_read_b32 v73, v7 offset:21568                           // 000000011030: D86C5440 49000007
	ds_read_b32 v74, v7 offset:21632                           // 000000011038: D86C5480 4A000007
	ds_read_b32 v75, v7 offset:21696                           // 000000011040: D86C54C0 4B000007
	ds_read_b32 v76, v7 offset:21760                           // 000000011048: D86C5500 4C000007
	ds_read_b32 v77, v7 offset:21824                           // 000000011050: D86C5540 4D000007
	ds_read_b32 v78, v7 offset:21888                           // 000000011058: D86C5580 4E000007
	ds_read_b32 v79, v7 offset:21952                           // 000000011060: D86C55C0 4F000007
	v_mul_f32_e32 v39, v50, v39                                // 000000011068: 0A4E4F32
	v_mov_b32_e32 v15, v128                                    // 00000001106C: 7E1E0380
	v_add_f32_e32 v15, v129, v15                               // 000000011070: 021E1F81
	v_add_f32_e32 v15, v130, v15                               // 000000011074: 021E1F82
	v_add_f32_e32 v15, v131, v15                               // 000000011078: 021E1F83
	v_add_f32_e32 v15, v132, v15                               // 00000001107C: 021E1F84
	v_add_f32_e32 v15, v133, v15                               // 000000011080: 021E1F85
	v_add_f32_e32 v15, v134, v15                               // 000000011084: 021E1F86
	v_add_f32_e32 v15, v135, v15                               // 000000011088: 021E1F87
	v_add_f32_e32 v15, v136, v15                               // 00000001108C: 021E1F88
	v_add_f32_e32 v15, v137, v15                               // 000000011090: 021E1F89
	v_add_f32_e32 v15, v138, v15                               // 000000011094: 021E1F8A
	v_add_f32_e32 v15, v139, v15                               // 000000011098: 021E1F8B
	v_add_f32_e32 v15, v140, v15                               // 00000001109C: 021E1F8C
	v_add_f32_e32 v15, v141, v15                               // 0000000110A0: 021E1F8D
	v_add_f32_e32 v15, v142, v15                               // 0000000110A4: 021E1F8E
	v_add_f32_e32 v15, v143, v15                               // 0000000110A8: 021E1F8F
	v_add_f32_e32 v39, v15, v39                                // 0000000110AC: 024E4F0F
	s_waitcnt lgkmcnt(0)                                       // 0000000110B0: BF8CC07F
	v_max3_f32 v48, |v64|, |v65|, v48                          // 0000000110B4: D1D30330 04C28340
	v_max3_f32 v48, |v66|, |v67|, v48                          // 0000000110BC: D1D30330 04C28742
	v_max3_f32 v48, |v68|, |v69|, v48                          // 0000000110C4: D1D30330 04C28B44
	v_max3_f32 v48, |v70|, |v71|, v48                          // 0000000110CC: D1D30330 04C28F46
	v_max3_f32 v48, |v72|, |v73|, v48                          // 0000000110D4: D1D30330 04C29348
	v_max3_f32 v48, |v74|, |v75|, v48                          // 0000000110DC: D1D30330 04C2974A
	v_max3_f32 v48, |v76|, |v77|, v48                          // 0000000110E4: D1D30330 04C29B4C
	v_max3_f32 v48, |v78|, |v79|, v48                          // 0000000110EC: D1D30330 04C29F4E
	s_nop 2                                                    // 0000000110F4: BF800002
	v_rcp_f32_e32 v48, v48                                     // 0000000110F8: 7E604530
	s_nop 1                                                    // 0000000110FC: BF800001
	v_mul_f32_e32 v48, 0x43e00000, v48                         // 000000011100: 0A6060FF 43E00000
	v_mul_f32_e32 v128, v48, v240                              // 000000011108: 0B01E130
	v_mul_f32_e32 v129, v48, v241                              // 00000001110C: 0B03E330
	v_mul_f32_e32 v130, v48, v242                              // 000000011110: 0B05E530
	v_mul_f32_e32 v131, v48, v243                              // 000000011114: 0B07E730
	v_mul_f32_e32 v132, v48, v244                              // 000000011118: 0B09E930
	v_mul_f32_e32 v133, v48, v245                              // 00000001111C: 0B0BEB30
	v_mul_f32_e32 v134, v48, v246                              // 000000011120: 0B0DED30
	v_mul_f32_e32 v135, v48, v247                              // 000000011124: 0B0FEF30
	v_mul_f32_e32 v136, v48, v248                              // 000000011128: 0B11F130
	v_mul_f32_e32 v137, v48, v249                              // 00000001112C: 0B13F330
	v_mul_f32_e32 v138, v48, v250                              // 000000011130: 0B15F530
	v_mul_f32_e32 v139, v48, v251                              // 000000011134: 0B17F730
	v_mul_f32_e32 v140, v48, v252                              // 000000011138: 0B19F930
	v_mul_f32_e32 v141, v48, v253                              // 00000001113C: 0B1BFB30
	v_mul_f32_e32 v142, v48, v254                              // 000000011140: 0B1DFD30
	v_mul_f32_e32 v143, v48, v255                              // 000000011144: 0B1FFF30
	v_cvt_pk_fp8_f32 v128, v128, v129                          // 000000011148: D2A20080 00030380
	v_cvt_pk_fp8_f32 v128, v130, v131 op_sel:[0,0,1]           // 000000011150: D2A24080 00030782
	v_cvt_pk_fp8_f32 v129, v132, v133                          // 000000011158: D2A20081 00030B84
	v_cvt_pk_fp8_f32 v129, v134, v135 op_sel:[0,0,1]           // 000000011160: D2A24081 00030F86
	v_cvt_pk_fp8_f32 v130, v136, v137                          // 000000011168: D2A20082 00031388
	v_cvt_pk_fp8_f32 v130, v138, v139 op_sel:[0,0,1]           // 000000011170: D2A24082 0003178A
	v_cvt_pk_fp8_f32 v131, v140, v141                          // 000000011178: D2A20083 00031B8C
	v_cvt_pk_fp8_f32 v131, v142, v143 op_sel:[0,0,1]           // 000000011180: D2A24083 00031F8E
	ds_write_b32 v10, v128 offset:29184                        // 000000011188: D81A7200 0000800A
	ds_write_b32 v10, v129 offset:30208                        // 000000011190: D81A7600 0000810A
	ds_write_b32 v10, v130 offset:31232                        // 000000011198: D81A7A00 0000820A
	ds_write_b32 v10, v131 offset:32256                        // 0000000111A0: D81A7E00 0000830A
	v_add_f32_e32 v216, v216, v184                             // 0000000111A8: 03B171D8
	v_add_f32_e32 v217, v217, v185                             // 0000000111AC: 03B373D9
	v_add_f32_e32 v218, v218, v186                             // 0000000111B0: 03B575DA
	v_add_f32_e32 v219, v219, v187                             // 0000000111B4: 03B777DB
	v_add_f32_e32 v220, v220, v188                             // 0000000111B8: 03B979DC
	v_add_f32_e32 v221, v221, v189                             // 0000000111BC: 03BB7BDD
	v_add_f32_e32 v222, v222, v190                             // 0000000111C0: 03BD7DDE
	v_add_f32_e32 v223, v223, v191                             // 0000000111C4: 03BF7FDF
	v_rcp_f32_e32 v45, v48                                     // 0000000111C8: 7E5A4530
	s_waitcnt lgkmcnt(0)                                       // 0000000111CC: BF8CC07F
	s_barrier                                                  // 0000000111D0: BF8A0000
	ds_read_b64 v[128:129], v9 offset:29184                    // 0000000111D4: D8EC7200 80000009
	ds_read_b64 v[130:131], v9 offset:29312                    // 0000000111DC: D8EC7280 82000009
	ds_read_b64 v[132:133], v9 offset:30208                    // 0000000111E4: D8EC7600 84000009
	ds_read_b64 v[134:135], v9 offset:30336                    // 0000000111EC: D8EC7680 86000009
	ds_read_b64 v[136:137], v9 offset:31232                    // 0000000111F4: D8EC7A00 88000009
	ds_read_b64 v[138:139], v9 offset:31360                    // 0000000111FC: D8EC7A80 8A000009
	ds_read_b64 v[140:141], v9 offset:32256                    // 000000011204: D8EC7E00 8C000009
	ds_read_b64 v[142:143], v9 offset:32384                    // 00000001120C: D8EC7E80 8E000009
	v_mov_b32_dpp v64, v43 row_shr:4 row_mask:0xf bank_mask:0xf// 000000011214: 7E8002FA FF01142B
	v_mov_b32_dpp v65, v43 row_shl:4 row_mask:0xf bank_mask:0xf// 00000001121C: 7E8202FA FF01042B
	v_cndmask_b32_e64 v248, v43, v64, s[44:45]                 // 000000011224: D10000F8 00B2812B
	v_cndmask_b32_e64 v249, v65, v43, s[44:45]                 // 00000001122C: D10000F9 00B25741
	v_mov_b32_dpp v64, v248 row_shr:8 row_mask:0xf bank_mask:0xf// 000000011234: 7E8002FA FF0118F8
	v_mov_b32_dpp v65, v248 row_shl:8 row_mask:0xf bank_mask:0xf// 00000001123C: 7E8202FA FF0108F8
	v_mov_b32_dpp v66, v249 row_shr:8 row_mask:0xf bank_mask:0xf// 000000011244: 7E8402FA FF0118F9
	v_mov_b32_dpp v67, v249 row_shl:8 row_mask:0xf bank_mask:0xf// 00000001124C: 7E8602FA FF0108F9
	v_mov_b32_e32 v68, v248                                    // 000000011254: 7E8803F8
	v_mov_b32_e32 v69, v249                                    // 000000011258: 7E8A03F9
	v_cndmask_b32_e64 v248, v68, v64, s[42:43]                 // 00000001125C: D10000F8 00AA8144
	v_cndmask_b32_e64 v250, v68, v65, s[78:79]                 // 000000011264: D10000FA 013A8344
	v_cndmask_b32_e64 v249, v69, v66, s[42:43]                 // 00000001126C: D10000F9 00AA8545
	v_cndmask_b32_e64 v251, v69, v67, s[78:79]                 // 000000011274: D10000FB 013A8745
	v_mov_b32_dpp v64, v58 row_shr:4 row_mask:0xf bank_mask:0xf// 00000001127C: 7E8002FA FF01143A
	v_mov_b32_dpp v65, v58 row_shl:4 row_mask:0xf bank_mask:0xf// 000000011284: 7E8202FA FF01043A
	v_cndmask_b32_e64 v252, v58, v64, s[44:45]                 // 00000001128C: D10000FC 00B2813A
	v_cndmask_b32_e64 v253, v65, v58, s[44:45]                 // 000000011294: D10000FD 00B27541
	v_mov_b32_dpp v64, v252 row_shr:8 row_mask:0xf bank_mask:0xf// 00000001129C: 7E8002FA FF0118FC
	v_mov_b32_dpp v65, v252 row_shl:8 row_mask:0xf bank_mask:0xf// 0000000112A4: 7E8202FA FF0108FC
	v_mov_b32_dpp v66, v253 row_shr:8 row_mask:0xf bank_mask:0xf// 0000000112AC: 7E8402FA FF0118FD
	v_mov_b32_dpp v67, v253 row_shl:8 row_mask:0xf bank_mask:0xf// 0000000112B4: 7E8602FA FF0108FD
	v_mov_b32_e32 v68, v252                                    // 0000000112BC: 7E8803FC
	v_mov_b32_e32 v69, v253                                    // 0000000112C0: 7E8A03FD
	v_cndmask_b32_e64 v252, v68, v64, s[42:43]                 // 0000000112C4: D10000FC 00AA8144
	v_cndmask_b32_e64 v254, v68, v65, s[78:79]                 // 0000000112CC: D10000FE 013A8344
	v_cndmask_b32_e64 v253, v69, v66, s[42:43]                 // 0000000112D4: D10000FD 00AA8545
	v_cndmask_b32_e64 v255, v69, v67, s[78:79]                 // 0000000112DC: D10000FF 013A8745
	v_mul_f32_e32 v144, v20, v144                              // 0000000112E4: 0B212114
	v_mul_f32_e32 v145, v20, v145                              // 0000000112E8: 0B232314
	v_mul_f32_e32 v146, v20, v146                              // 0000000112EC: 0B252514
	v_mul_f32_e32 v147, v20, v147                              // 0000000112F0: 0B272714
	v_mul_f32_e32 v148, v20, v148                              // 0000000112F4: 0B292914
	v_mul_f32_e32 v149, v20, v149                              // 0000000112F8: 0B2B2B14
	v_mul_f32_e32 v150, v20, v150                              // 0000000112FC: 0B2D2D14
	v_mul_f32_e32 v151, v20, v151                              // 000000011300: 0B2F2F14
	v_mul_f32_e32 v152, v20, v152                              // 000000011304: 0B313114
	v_mul_f32_e32 v153, v20, v153                              // 000000011308: 0B333314
	v_mul_f32_e32 v154, v20, v154                              // 00000001130C: 0B353514
	v_mul_f32_e32 v155, v20, v155                              // 000000011310: 0B373714
	v_mul_f32_e32 v156, v20, v156                              // 000000011314: 0B393914
	v_mul_f32_e32 v157, v20, v157                              // 000000011318: 0B3B3B14
	v_mul_f32_e32 v158, v20, v158                              // 00000001131C: 0B3D3D14
	v_mul_f32_e32 v159, v20, v159                              // 000000011320: 0B3F3F14
	v_mul_f32_dpp v144, v248, v144 quad_perm:[0,0,0,0] row_mask:0xf bank_mask:0xf// 000000011324: 0B2120FA FF0000F8
	v_mul_f32_dpp v145, v248, v145 quad_perm:[1,1,1,1] row_mask:0xf bank_mask:0xf// 00000001132C: 0B2322FA FF0055F8
	v_mul_f32_dpp v146, v248, v146 quad_perm:[2,2,2,2] row_mask:0xf bank_mask:0xf// 000000011334: 0B2524FA FF00AAF8
	v_mul_f32_dpp v147, v248, v147 quad_perm:[3,3,3,3] row_mask:0xf bank_mask:0xf// 00000001133C: 0B2726FA FF00FFF8
	v_mul_f32_dpp v148, v249, v148 quad_perm:[0,0,0,0] row_mask:0xf bank_mask:0xf// 000000011344: 0B2928FA FF0000F9
	v_mul_f32_dpp v149, v249, v149 quad_perm:[1,1,1,1] row_mask:0xf bank_mask:0xf// 00000001134C: 0B2B2AFA FF0055F9
	v_mul_f32_dpp v150, v249, v150 quad_perm:[2,2,2,2] row_mask:0xf bank_mask:0xf// 000000011354: 0B2D2CFA FF00AAF9
	v_mul_f32_dpp v151, v249, v151 quad_perm:[3,3,3,3] row_mask:0xf bank_mask:0xf// 00000001135C: 0B2F2EFA FF00FFF9
	v_mul_f32_dpp v152, v250, v152 quad_perm:[0,0,0,0] row_mask:0xf bank_mask:0xf// 000000011364: 0B3130FA FF0000FA
	v_mul_f32_dpp v153, v250, v153 quad_perm:[1,1,1,1] row_mask:0xf bank_mask:0xf// 00000001136C: 0B3332FA FF0055FA
	v_mul_f32_dpp v154, v250, v154 quad_perm:[2,2,2,2] row_mask:0xf bank_mask:0xf// 000000011374: 0B3534FA FF00AAFA
	v_mul_f32_dpp v155, v250, v155 quad_perm:[3,3,3,3] row_mask:0xf bank_mask:0xf// 00000001137C: 0B3736FA FF00FFFA
	v_mul_f32_dpp v156, v251, v156 quad_perm:[0,0,0,0] row_mask:0xf bank_mask:0xf// 000000011384: 0B3938FA FF0000FB
	v_mul_f32_dpp v157, v251, v157 quad_perm:[1,1,1,1] row_mask:0xf bank_mask:0xf// 00000001138C: 0B3B3AFA FF0055FB
	v_mul_f32_dpp v158, v251, v158 quad_perm:[2,2,2,2] row_mask:0xf bank_mask:0xf// 000000011394: 0B3D3CFA FF00AAFB
	v_mul_f32_dpp v159, v251, v159 quad_perm:[3,3,3,3] row_mask:0xf bank_mask:0xf// 00000001139C: 0B3F3EFA FF00FFFB
	v_mov_b32_e32 v48, v144                                    // 0000000113A4: 7E600390
	v_max3_f32 v48, v144, v145, v48                            // 0000000113A8: D1D30030 04C32390
	v_max3_f32 v48, v146, v147, v48                            // 0000000113B0: D1D30030 04C32792
	v_max3_f32 v48, v148, v149, v48                            // 0000000113B8: D1D30030 04C32B94
	v_max3_f32 v48, v150, v151, v48                            // 0000000113C0: D1D30030 04C32F96
	v_max3_f32 v48, v152, v153, v48                            // 0000000113C8: D1D30030 04C33398
	v_max3_f32 v48, v154, v155, v48                            // 0000000113D0: D1D30030 04C3379A
	v_max3_f32 v48, v156, v157, v48                            // 0000000113D8: D1D30030 04C33B9C
	v_max3_f32 v48, v158, v159, v48                            // 0000000113E0: D1D30030 04C33F9E
	ds_write_b32 v8, v48 offset:16896                          // 0000000113E8: D81A4200 00003008
	v_mul_f32_e32 v224, v51, v224                              // 0000000113F0: 0BC1C133
	v_mul_f32_e32 v225, v51, v225                              // 0000000113F4: 0BC3C333
	v_mul_f32_e32 v226, v51, v226                              // 0000000113F8: 0BC5C533
	v_mul_f32_e32 v227, v51, v227                              // 0000000113FC: 0BC7C733
	v_mul_f32_e32 v228, v51, v228                              // 000000011400: 0BC9C933
	v_mul_f32_e32 v229, v51, v229                              // 000000011404: 0BCBCB33
	v_mul_f32_e32 v230, v51, v230                              // 000000011408: 0BCDCD33
	v_mul_f32_e32 v231, v51, v231                              // 00000001140C: 0BCFCF33
	s_waitcnt lgkmcnt(0)                                       // 000000011410: BF8CC07F
	s_barrier                                                  // 000000011414: BF8A0000
	ds_read_b32 v64, v7 offset:16896                           // 000000011418: D86C4200 40000007
	ds_read_b32 v65, v7 offset:16960                           // 000000011420: D86C4240 41000007
	ds_read_b32 v66, v7 offset:17024                           // 000000011428: D86C4280 42000007
	ds_read_b32 v67, v7 offset:17088                           // 000000011430: D86C42C0 43000007
	ds_read_b32 v68, v7 offset:17152                           // 000000011438: D86C4300 44000007
	ds_read_b32 v69, v7 offset:17216                           // 000000011440: D86C4340 45000007
	ds_read_b32 v70, v7 offset:17280                           // 000000011448: D86C4380 46000007
	ds_read_b32 v71, v7 offset:17344                           // 000000011450: D86C43C0 47000007
	ds_read_b32 v72, v7 offset:17408                           // 000000011458: D86C4400 48000007
	ds_read_b32 v73, v7 offset:17472                           // 000000011460: D86C4440 49000007
	ds_read_b32 v74, v7 offset:17536                           // 000000011468: D86C4480 4A000007
	ds_read_b32 v75, v7 offset:17600                           // 000000011470: D86C44C0 4B000007
	ds_read_b32 v76, v7 offset:17664                           // 000000011478: D86C4500 4C000007
	ds_read_b32 v77, v7 offset:17728                           // 000000011480: D86C4540 4D000007
	ds_read_b32 v78, v7 offset:17792                           // 000000011488: D86C4580 4E000007
	ds_read_b32 v79, v7 offset:17856                           // 000000011490: D86C45C0 4F000007
	v_mul_f32_e32 v192, v46, v192                              // 000000011498: 0B81812E
	v_mul_f32_e32 v193, v46, v193                              // 00000001149C: 0B83832E
	v_mul_f32_e32 v194, v46, v194                              // 0000000114A0: 0B85852E
	v_mul_f32_e32 v195, v46, v195                              // 0000000114A4: 0B87872E
	v_mul_f32_e32 v196, v46, v196                              // 0000000114A8: 0B89892E
	v_mul_f32_e32 v197, v46, v197                              // 0000000114AC: 0B8B8B2E
	v_mul_f32_e32 v198, v46, v198                              // 0000000114B0: 0B8D8D2E
	v_mul_f32_e32 v199, v46, v199                              // 0000000114B4: 0B8F8F2E
	s_waitcnt lgkmcnt(0)                                       // 0000000114B8: BF8CC07F
	v_max3_f32 v48, v64, v65, v48                              // 0000000114BC: D1D30030 04C28340
	v_max3_f32 v48, v66, v67, v48                              // 0000000114C4: D1D30030 04C28742
	v_max3_f32 v48, v68, v69, v48                              // 0000000114CC: D1D30030 04C28B44
	v_max3_f32 v48, v70, v71, v48                              // 0000000114D4: D1D30030 04C28F46
	v_max3_f32 v48, v72, v73, v48                              // 0000000114DC: D1D30030 04C29348
	v_max3_f32 v48, v74, v75, v48                              // 0000000114E4: D1D30030 04C2974A
	v_max3_f32 v48, v76, v77, v48                              // 0000000114EC: D1D30030 04C29B4C
	v_max3_f32 v48, v78, v79, v48                              // 0000000114F4: D1D30030 04C29F4E
	v_mov_b32_e32 v64, 0xff800000                              // 0000000114FC: 7E8002FF FF800000
	v_cmp_eq_u32_e64 s[40:41], v64, v13                        // 000000011504: D0CA0028 00021B40
	s_nop 1                                                    // 00000001150C: BF800001
	v_max_f32_e32 v15, v48, v13                                // 000000011510: 161E1B30
	v_mul_f32_e32 v53, s64, v15                                // 000000011514: 0A6A1E40
	v_fma_f32 v144, v144, s64, -v53                            // 000000011518: D1CB0090 84D48190
	v_fma_f32 v145, v145, s64, -v53                            // 000000011520: D1CB0091 84D48191
	v_fma_f32 v146, v146, s64, -v53                            // 000000011528: D1CB0092 84D48192
	v_fma_f32 v147, v147, s64, -v53                            // 000000011530: D1CB0093 84D48193
	v_fma_f32 v148, v148, s64, -v53                            // 000000011538: D1CB0094 84D48194
	v_fma_f32 v149, v149, s64, -v53                            // 000000011540: D1CB0095 84D48195
	v_fma_f32 v150, v150, s64, -v53                            // 000000011548: D1CB0096 84D48196
	v_fma_f32 v151, v151, s64, -v53                            // 000000011550: D1CB0097 84D48197
	v_fma_f32 v152, v152, s64, -v53                            // 000000011558: D1CB0098 84D48198
	v_fma_f32 v153, v153, s64, -v53                            // 000000011560: D1CB0099 84D48199
	v_fma_f32 v154, v154, s64, -v53                            // 000000011568: D1CB009A 84D4819A
	v_fma_f32 v155, v155, s64, -v53                            // 000000011570: D1CB009B 84D4819B
	v_fma_f32 v156, v156, s64, -v53                            // 000000011578: D1CB009C 84D4819C
	v_fma_f32 v157, v157, s64, -v53                            // 000000011580: D1CB009D 84D4819D
	v_fma_f32 v158, v158, s64, -v53                            // 000000011588: D1CB009E 84D4819E
	v_fma_f32 v159, v159, s64, -v53                            // 000000011590: D1CB009F 84D4819F
	v_exp_f32_e32 v144, v144                                   // 000000011598: 7F204190
	v_exp_f32_e32 v145, v145                                   // 00000001159C: 7F224191
	v_exp_f32_e32 v146, v146                                   // 0000000115A0: 7F244192
	v_exp_f32_e32 v147, v147                                   // 0000000115A4: 7F264193
	v_exp_f32_e32 v148, v148                                   // 0000000115A8: 7F284194
	v_exp_f32_e32 v149, v149                                   // 0000000115AC: 7F2A4195
	v_exp_f32_e32 v150, v150                                   // 0000000115B0: 7F2C4196
	v_exp_f32_e32 v151, v151                                   // 0000000115B4: 7F2E4197
	v_exp_f32_e32 v152, v152                                   // 0000000115B8: 7F304198
	v_exp_f32_e32 v153, v153                                   // 0000000115BC: 7F324199
	v_exp_f32_e32 v154, v154                                   // 0000000115C0: 7F34419A
	v_exp_f32_e32 v155, v155                                   // 0000000115C4: 7F36419B
	v_exp_f32_e32 v156, v156                                   // 0000000115C8: 7F38419C
	v_exp_f32_e32 v157, v157                                   // 0000000115CC: 7F3A419D
	v_exp_f32_e32 v158, v158                                   // 0000000115D0: 7F3C419E
	v_exp_f32_e32 v159, v159                                   // 0000000115D4: 7F3E419F
	v_mul_f32_dpp v240, v252, v144 quad_perm:[0,0,0,0] row_mask:0xf bank_mask:0xf// 0000000115D8: 0BE120FA FF0000FC
	v_mul_f32_dpp v241, v252, v145 quad_perm:[1,1,1,1] row_mask:0xf bank_mask:0xf// 0000000115E0: 0BE322FA FF0055FC
	v_mul_f32_dpp v242, v252, v146 quad_perm:[2,2,2,2] row_mask:0xf bank_mask:0xf// 0000000115E8: 0BE524FA FF00AAFC
	v_mul_f32_dpp v243, v252, v147 quad_perm:[3,3,3,3] row_mask:0xf bank_mask:0xf// 0000000115F0: 0BE726FA FF00FFFC
	v_mul_f32_dpp v244, v253, v148 quad_perm:[0,0,0,0] row_mask:0xf bank_mask:0xf// 0000000115F8: 0BE928FA FF0000FD
	v_mul_f32_dpp v245, v253, v149 quad_perm:[1,1,1,1] row_mask:0xf bank_mask:0xf// 000000011600: 0BEB2AFA FF0055FD
	v_mul_f32_dpp v246, v253, v150 quad_perm:[2,2,2,2] row_mask:0xf bank_mask:0xf// 000000011608: 0BED2CFA FF00AAFD
	v_mul_f32_dpp v247, v253, v151 quad_perm:[3,3,3,3] row_mask:0xf bank_mask:0xf// 000000011610: 0BEF2EFA FF00FFFD
	v_mul_f32_dpp v248, v254, v152 quad_perm:[0,0,0,0] row_mask:0xf bank_mask:0xf// 000000011618: 0BF130FA FF0000FE
	v_mul_f32_dpp v249, v254, v153 quad_perm:[1,1,1,1] row_mask:0xf bank_mask:0xf// 000000011620: 0BF332FA FF0055FE
	v_mul_f32_dpp v250, v254, v154 quad_perm:[2,2,2,2] row_mask:0xf bank_mask:0xf// 000000011628: 0BF534FA FF00AAFE
	v_mul_f32_dpp v251, v254, v155 quad_perm:[3,3,3,3] row_mask:0xf bank_mask:0xf// 000000011630: 0BF736FA FF00FFFE
	v_mul_f32_dpp v252, v255, v156 quad_perm:[0,0,0,0] row_mask:0xf bank_mask:0xf// 000000011638: 0BF938FA FF0000FF
	v_mul_f32_dpp v253, v255, v157 quad_perm:[1,1,1,1] row_mask:0xf bank_mask:0xf// 000000011640: 0BFB3AFA FF0055FF
	v_mul_f32_dpp v254, v255, v158 quad_perm:[2,2,2,2] row_mask:0xf bank_mask:0xf// 000000011648: 0BFD3CFA FF00AAFF
	v_mul_f32_dpp v255, v255, v159 quad_perm:[3,3,3,3] row_mask:0xf bank_mask:0xf// 000000011650: 0BFF3EFA FF00FFFF
	v_mov_b32_e32 v48, 0x358637bd                              // 000000011658: 7E6002FF 358637BD
	v_max3_f32 v48, |v240|, |v241|, v48                        // 000000011660: D1D30330 04C3E3F0
	v_max3_f32 v48, |v242|, |v243|, v48                        // 000000011668: D1D30330 04C3E7F2
	v_max3_f32 v48, |v244|, |v245|, v48                        // 000000011670: D1D30330 04C3EBF4
	v_max3_f32 v48, |v246|, |v247|, v48                        // 000000011678: D1D30330 04C3EFF6
	v_max3_f32 v48, |v248|, |v249|, v48                        // 000000011680: D1D30330 04C3F3F8
	v_max3_f32 v48, |v250|, |v251|, v48                        // 000000011688: D1D30330 04C3F7FA
	v_max3_f32 v48, |v252|, |v253|, v48                        // 000000011690: D1D30330 04C3FBFC
	v_max3_f32 v48, |v254|, |v255|, v48                        // 000000011698: D1D30330 04C3FFFE
	ds_write_b32 v8, v48 offset:20992                          // 0000000116A0: D81A5200 00003008
	v_sub_f32_e32 v51, v13, v15                                // 0000000116A8: 04661F0D
	v_cndmask_b32_e64 v51, v51, 0, s[40:41]                    // 0000000116AC: D1000033 00A10133
	v_mov_b32_e32 v13, v15                                     // 0000000116B4: 7E1A030F
	v_mul_f32_e32 v51, s64, v51                                // 0000000116B8: 0A666640
	v_exp_f32_e32 v51, v51                                     // 0000000116BC: 7E664133
	s_waitcnt lgkmcnt(0)                                       // 0000000116C0: BF8CC07F
	s_barrier                                                  // 0000000116C4: BF8A0000
	ds_read_b32 v64, v7 offset:20992                           // 0000000116C8: D86C5200 40000007
	ds_read_b32 v65, v7 offset:21056                           // 0000000116D0: D86C5240 41000007
	ds_read_b32 v66, v7 offset:21120                           // 0000000116D8: D86C5280 42000007
	ds_read_b32 v67, v7 offset:21184                           // 0000000116E0: D86C52C0 43000007
	ds_read_b32 v68, v7 offset:21248                           // 0000000116E8: D86C5300 44000007
	ds_read_b32 v69, v7 offset:21312                           // 0000000116F0: D86C5340 45000007
	ds_read_b32 v70, v7 offset:21376                           // 0000000116F8: D86C5380 46000007
	ds_read_b32 v71, v7 offset:21440                           // 000000011700: D86C53C0 47000007
	ds_read_b32 v72, v7 offset:21504                           // 000000011708: D86C5400 48000007
	ds_read_b32 v73, v7 offset:21568                           // 000000011710: D86C5440 49000007
	ds_read_b32 v74, v7 offset:21632                           // 000000011718: D86C5480 4A000007
	ds_read_b32 v75, v7 offset:21696                           // 000000011720: D86C54C0 4B000007
	ds_read_b32 v76, v7 offset:21760                           // 000000011728: D86C5500 4C000007
	ds_read_b32 v77, v7 offset:21824                           // 000000011730: D86C5540 4D000007
	ds_read_b32 v78, v7 offset:21888                           // 000000011738: D86C5580 4E000007
	ds_read_b32 v79, v7 offset:21952                           // 000000011740: D86C55C0 4F000007
	v_mul_f32_e32 v40, v51, v40                                // 000000011748: 0A505133
	v_mov_b32_e32 v15, v144                                    // 00000001174C: 7E1E0390
	v_add_f32_e32 v15, v145, v15                               // 000000011750: 021E1F91
	v_add_f32_e32 v15, v146, v15                               // 000000011754: 021E1F92
	v_add_f32_e32 v15, v147, v15                               // 000000011758: 021E1F93
	v_add_f32_e32 v15, v148, v15                               // 00000001175C: 021E1F94
	v_add_f32_e32 v15, v149, v15                               // 000000011760: 021E1F95
	v_add_f32_e32 v15, v150, v15                               // 000000011764: 021E1F96
	v_add_f32_e32 v15, v151, v15                               // 000000011768: 021E1F97
	v_add_f32_e32 v15, v152, v15                               // 00000001176C: 021E1F98
	v_add_f32_e32 v15, v153, v15                               // 000000011770: 021E1F99
	v_add_f32_e32 v15, v154, v15                               // 000000011774: 021E1F9A
	v_add_f32_e32 v15, v155, v15                               // 000000011778: 021E1F9B
	v_add_f32_e32 v15, v156, v15                               // 00000001177C: 021E1F9C
	v_add_f32_e32 v15, v157, v15                               // 000000011780: 021E1F9D
	v_add_f32_e32 v15, v158, v15                               // 000000011784: 021E1F9E
	v_add_f32_e32 v15, v159, v15                               // 000000011788: 021E1F9F
	v_add_f32_e32 v40, v15, v40                                // 00000001178C: 0250510F
	s_waitcnt lgkmcnt(0)                                       // 000000011790: BF8CC07F
	v_max3_f32 v48, |v64|, |v65|, v48                          // 000000011794: D1D30330 04C28340
	v_max3_f32 v48, |v66|, |v67|, v48                          // 00000001179C: D1D30330 04C28742
	v_max3_f32 v48, |v68|, |v69|, v48                          // 0000000117A4: D1D30330 04C28B44
	v_max3_f32 v48, |v70|, |v71|, v48                          // 0000000117AC: D1D30330 04C28F46
	v_max3_f32 v48, |v72|, |v73|, v48                          // 0000000117B4: D1D30330 04C29348
	v_max3_f32 v48, |v74|, |v75|, v48                          // 0000000117BC: D1D30330 04C2974A
	v_max3_f32 v48, |v76|, |v77|, v48                          // 0000000117C4: D1D30330 04C29B4C
	v_max3_f32 v48, |v78|, |v79|, v48                          // 0000000117CC: D1D30330 04C29F4E
	s_nop 2                                                    // 0000000117D4: BF800002
	v_rcp_f32_e32 v48, v48                                     // 0000000117D8: 7E604530
	s_nop 1                                                    // 0000000117DC: BF800001
	v_mul_f32_e32 v48, 0x43e00000, v48                         // 0000000117E0: 0A6060FF 43E00000
	v_mul_f32_e32 v144, v48, v240                              // 0000000117E8: 0B21E130
	v_mul_f32_e32 v145, v48, v241                              // 0000000117EC: 0B23E330
	v_mul_f32_e32 v146, v48, v242                              // 0000000117F0: 0B25E530
	v_mul_f32_e32 v147, v48, v243                              // 0000000117F4: 0B27E730
	v_mul_f32_e32 v148, v48, v244                              // 0000000117F8: 0B29E930
	v_mul_f32_e32 v149, v48, v245                              // 0000000117FC: 0B2BEB30
	v_mul_f32_e32 v150, v48, v246                              // 000000011800: 0B2DED30
	v_mul_f32_e32 v151, v48, v247                              // 000000011804: 0B2FEF30
	v_mul_f32_e32 v152, v48, v248                              // 000000011808: 0B31F130
	v_mul_f32_e32 v153, v48, v249                              // 00000001180C: 0B33F330
	v_mul_f32_e32 v154, v48, v250                              // 000000011810: 0B35F530
	v_mul_f32_e32 v155, v48, v251                              // 000000011814: 0B37F730
	v_mul_f32_e32 v156, v48, v252                              // 000000011818: 0B39F930
	v_mul_f32_e32 v157, v48, v253                              // 00000001181C: 0B3BFB30
	v_mul_f32_e32 v158, v48, v254                              // 000000011820: 0B3DFD30
	v_mul_f32_e32 v159, v48, v255                              // 000000011824: 0B3FFF30
	v_cvt_pk_fp8_f32 v144, v144, v145                          // 000000011828: D2A20090 00032390
	v_cvt_pk_fp8_f32 v144, v146, v147 op_sel:[0,0,1]           // 000000011830: D2A24090 00032792
	v_cvt_pk_fp8_f32 v145, v148, v149                          // 000000011838: D2A20091 00032B94
	v_cvt_pk_fp8_f32 v145, v150, v151 op_sel:[0,0,1]           // 000000011840: D2A24091 00032F96
	v_cvt_pk_fp8_f32 v146, v152, v153                          // 000000011848: D2A20092 00033398
	v_cvt_pk_fp8_f32 v146, v154, v155 op_sel:[0,0,1]           // 000000011850: D2A24092 0003379A
	v_cvt_pk_fp8_f32 v147, v156, v157                          // 000000011858: D2A20093 00033B9C
	v_cvt_pk_fp8_f32 v147, v158, v159 op_sel:[0,0,1]           // 000000011860: D2A24093 00033F9E
	ds_write_b32 v10, v144 offset:33280                        // 000000011868: D81A8200 0000900A
	ds_write_b32 v10, v145 offset:34304                        // 000000011870: D81A8600 0000910A
	ds_write_b32 v10, v146 offset:35328                        // 000000011878: D81A8A00 0000920A
	ds_write_b32 v10, v147 offset:36352                        // 000000011880: D81A8E00 0000930A
	v_add_f32_e32 v224, v224, v192                             // 000000011888: 03C181E0
	v_add_f32_e32 v225, v225, v193                             // 00000001188C: 03C383E1
	v_add_f32_e32 v226, v226, v194                             // 000000011890: 03C585E2
	v_add_f32_e32 v227, v227, v195                             // 000000011894: 03C787E3
	v_add_f32_e32 v228, v228, v196                             // 000000011898: 03C989E4
	v_add_f32_e32 v229, v229, v197                             // 00000001189C: 03CB8BE5
	v_add_f32_e32 v230, v230, v198                             // 0000000118A0: 03CD8DE6
	v_add_f32_e32 v231, v231, v199                             // 0000000118A4: 03CF8FE7
	v_rcp_f32_e32 v46, v48                                     // 0000000118A8: 7E5C4530
	s_waitcnt lgkmcnt(0)                                       // 0000000118AC: BF8CC07F
	s_barrier                                                  // 0000000118B0: BF8A0000
	ds_read_b64 v[144:145], v9 offset:33280                    // 0000000118B4: D8EC8200 90000009
	ds_read_b64 v[146:147], v9 offset:33408                    // 0000000118BC: D8EC8280 92000009
	ds_read_b64 v[148:149], v9 offset:34304                    // 0000000118C4: D8EC8600 94000009
	ds_read_b64 v[150:151], v9 offset:34432                    // 0000000118CC: D8EC8680 96000009
	ds_read_b64 v[152:153], v9 offset:35328                    // 0000000118D4: D8EC8A00 98000009
	ds_read_b64 v[154:155], v9 offset:35456                    // 0000000118DC: D8EC8A80 9A000009
	ds_read_b64 v[156:157], v9 offset:36352                    // 0000000118E4: D8EC8E00 9C000009
	ds_read_b64 v[158:159], v9 offset:36480                    // 0000000118EC: D8EC8E80 9E000009
	s_waitcnt vmcnt(15)                                        // 0000000118F4: BF8C0F7F
	v_mfma_f32_16x16x32_fp8_fp8 v[176:179], a[96:97], v[112:113], 0// 0000000118F8: D3F300B0 0A02E160
	v_mfma_f32_16x16x32_fp8_fp8 v[176:179], a[98:99], v[114:115], v[176:179]// 000000011900: D3F300B0 0EC2E562
	buffer_load_dwordx4 a[80:83], v30, s[20:23], 0 offen offset:1024// 000000011908: E05C1400 8085501E
	v_mfma_f32_16x16x32_fp8_fp8 v[176:179], a[100:101], v[116:117], v[176:179]// 000000011910: D3F300B0 0EC2E964
	v_mfma_f32_16x16x32_fp8_fp8 v[176:179], a[102:103], v[118:119], v[176:179]// 000000011918: D3F300B0 0EC2ED66
	v_mfma_f32_16x16x32_fp8_fp8 v[176:179], a[104:105], v[120:121], v[176:179]// 000000011920: D3F300B0 0EC2F168
	v_mfma_f32_16x16x32_fp8_fp8 v[176:179], a[106:107], v[122:123], v[176:179]// 000000011928: D3F300B0 0EC2F56A
	buffer_load_dwordx4 a[84:87], v31, s[20:23], 0 offen offset:1024// 000000011930: E05C1400 8085541F
	v_mfma_f32_16x16x32_fp8_fp8 v[176:179], a[108:109], v[124:125], v[176:179]// 000000011938: D3F300B0 0EC2F96C
	v_mfma_f32_16x16x32_fp8_fp8 v[176:179], a[110:111], v[126:127], v[176:179]// 000000011940: D3F300B0 0EC2FD6E
	v_mfma_f32_16x16x32_fp8_fp8 v[180:183], a[112:113], v[112:113], 0// 000000011948: D3F300B4 0A02E170
	v_mfma_f32_16x16x32_fp8_fp8 v[180:183], a[114:115], v[114:115], v[180:183]// 000000011950: D3F300B4 0ED2E572
	buffer_load_dwordx4 a[88:91], v32, s[20:23], 0 offen offset:1024// 000000011958: E05C1400 80855820
	v_mfma_f32_16x16x32_fp8_fp8 v[180:183], a[116:117], v[116:117], v[180:183]// 000000011960: D3F300B4 0ED2E974
	v_mfma_f32_16x16x32_fp8_fp8 v[180:183], a[118:119], v[118:119], v[180:183]// 000000011968: D3F300B4 0ED2ED76
	v_mfma_f32_16x16x32_fp8_fp8 v[180:183], a[120:121], v[120:121], v[180:183]// 000000011970: D3F300B4 0ED2F178
	v_mfma_f32_16x16x32_fp8_fp8 v[180:183], a[122:123], v[122:123], v[180:183]// 000000011978: D3F300B4 0ED2F57A
	buffer_load_dwordx4 a[92:95], v33, s[20:23], 0 offen offset:1024// 000000011980: E05C1400 80855C21
	v_mfma_f32_16x16x32_fp8_fp8 v[180:183], a[124:125], v[124:125], v[180:183]// 000000011988: D3F300B4 0ED2F97C
	s_lshr_b32 s57, s70, 4                                     // 000000011990: 8F398446
	s_add_u32 s57, 48, s57                                     // 000000011994: 803939B0
	v_mfma_f32_16x16x32_fp8_fp8 v[180:183], a[126:127], v[126:127], v[180:183]// 000000011998: D3F300B4 0ED2FD7E
	s_cmp_ge_u32 s57, s73                                      // 0000000119A0: BF094939
	s_cselect_b32 s56, 0, s56                                  // 0000000119A4: 85383880
	v_mfma_f32_16x16x32_fp8_fp8 v[184:187], a[96:97], v[128:129], 0// 0000000119A8: D3F300B8 0A030160
	v_mfma_f32_16x16x32_fp8_fp8 v[184:187], a[98:99], v[130:131], v[184:187]// 0000000119B0: D3F300B8 0EE30562
	v_mfma_f32_16x16x32_fp8_fp8 v[184:187], a[100:101], v[132:133], v[184:187]// 0000000119B8: D3F300B8 0EE30964
	v_mfma_f32_16x16x32_fp8_fp8 v[184:187], a[102:103], v[134:135], v[184:187]// 0000000119C0: D3F300B8 0EE30D66
	v_mfma_f32_16x16x32_fp8_fp8 v[184:187], a[104:105], v[136:137], v[184:187]// 0000000119C8: D3F300B8 0EE31168
	v_mfma_f32_16x16x32_fp8_fp8 v[184:187], a[106:107], v[138:139], v[184:187]// 0000000119D0: D3F300B8 0EE3156A
	v_mfma_f32_16x16x32_fp8_fp8 v[184:187], a[108:109], v[140:141], v[184:187]// 0000000119D8: D3F300B8 0EE3196C
	v_mfma_f32_16x16x32_fp8_fp8 v[184:187], a[110:111], v[142:143], v[184:187]// 0000000119E0: D3F300B8 0EE31D6E
	v_mfma_f32_16x16x32_fp8_fp8 v[188:191], a[112:113], v[128:129], 0// 0000000119E8: D3F300BC 0A030170
	v_mfma_f32_16x16x32_fp8_fp8 v[188:191], a[114:115], v[130:131], v[188:191]// 0000000119F0: D3F300BC 0EF30572
	v_mfma_f32_16x16x32_fp8_fp8 v[188:191], a[116:117], v[132:133], v[188:191]// 0000000119F8: D3F300BC 0EF30974
	v_mfma_f32_16x16x32_fp8_fp8 v[188:191], a[118:119], v[134:135], v[188:191]// 000000011A00: D3F300BC 0EF30D76
	v_mfma_f32_16x16x32_fp8_fp8 v[188:191], a[120:121], v[136:137], v[188:191]// 000000011A08: D3F300BC 0EF31178
	v_mfma_f32_16x16x32_fp8_fp8 v[188:191], a[122:123], v[138:139], v[188:191]// 000000011A10: D3F300BC 0EF3157A
	v_mfma_f32_16x16x32_fp8_fp8 v[188:191], a[124:125], v[140:141], v[188:191]// 000000011A18: D3F300BC 0EF3197C
	v_mfma_f32_16x16x32_fp8_fp8 v[188:191], a[126:127], v[142:143], v[188:191]// 000000011A20: D3F300BC 0EF31D7E
	v_mfma_f32_16x16x32_fp8_fp8 v[192:195], a[96:97], v[144:145], 0// 000000011A28: D3F300C0 0A032160
	v_mfma_f32_16x16x32_fp8_fp8 v[192:195], a[98:99], v[146:147], v[192:195]// 000000011A30: D3F300C0 0F032562
	v_mfma_f32_16x16x32_fp8_fp8 v[192:195], a[100:101], v[148:149], v[192:195]// 000000011A38: D3F300C0 0F032964
	v_mfma_f32_16x16x32_fp8_fp8 v[192:195], a[102:103], v[150:151], v[192:195]// 000000011A40: D3F300C0 0F032D66
	v_mfma_f32_16x16x32_fp8_fp8 v[192:195], a[104:105], v[152:153], v[192:195]// 000000011A48: D3F300C0 0F033168
	v_mfma_f32_16x16x32_fp8_fp8 v[192:195], a[106:107], v[154:155], v[192:195]// 000000011A50: D3F300C0 0F03356A
	v_mfma_f32_16x16x32_fp8_fp8 v[192:195], a[108:109], v[156:157], v[192:195]// 000000011A58: D3F300C0 0F03396C
	v_mfma_f32_16x16x32_fp8_fp8 v[192:195], a[110:111], v[158:159], v[192:195]// 000000011A60: D3F300C0 0F033D6E
	v_mfma_f32_16x16x32_fp8_fp8 v[196:199], a[112:113], v[144:145], 0// 000000011A68: D3F300C4 0A032170
	v_mfma_f32_16x16x32_fp8_fp8 v[196:199], a[114:115], v[146:147], v[196:199]// 000000011A70: D3F300C4 0F132572
	v_mfma_f32_16x16x32_fp8_fp8 v[196:199], a[116:117], v[148:149], v[196:199]// 000000011A78: D3F300C4 0F132974
	v_mfma_f32_16x16x32_fp8_fp8 v[196:199], a[118:119], v[150:151], v[196:199]// 000000011A80: D3F300C4 0F132D76
	v_mfma_f32_16x16x32_fp8_fp8 v[196:199], a[120:121], v[152:153], v[196:199]// 000000011A88: D3F300C4 0F133178
	v_mfma_f32_16x16x32_fp8_fp8 v[196:199], a[122:123], v[154:155], v[196:199]// 000000011A90: D3F300C4 0F13357A
	v_mfma_f32_16x16x32_fp8_fp8 v[196:199], a[124:125], v[156:157], v[196:199]// 000000011A98: D3F300C4 0F13397C
	v_mfma_f32_16x16x32_fp8_fp8 v[196:199], a[126:127], v[158:159], v[196:199]// 000000011AA0: D3F300C4 0F133D7E
	v_add_u32_e32 v1, s56, v1                                  // 000000011AA8: 68020238
	s_addk_i32 s70, 0x100                                      // 000000011AAC: B7460100
	s_cmp_lt_i32 s70, s71                                      // 000000011AB0: BF044746
	s_cbranch_scc0 label_3E2F                                  // 000000011AB4: BF840001
	s_branch label_31C2                                        // 000000011AB8: BF82F393

0000000000011abc <label_3E2F>:
	s_nop 0                                                    // 000000011ABC: BF800000
	s_nop 0                                                    // 000000011AC0: BF800000
	s_branch label_4A9F                                        // 000000011AC4: BF820C6D

0000000000011ac8 <label_3E32>:
	s_waitcnt vmcnt(8) lgkmcnt(0)                              // 000000011AC8: BF8C0078
	v_mul_u32_u24_dpp v64, v17, v54 row_newbcast:0 row_mask:0xf bank_mask:0xf// 000000011ACC: 10806CFA FF015011
	v_mul_u32_u24_dpp v65, v17, v54 row_newbcast:4 row_mask:0xf bank_mask:0xf// 000000011AD4: 10826CFA FF015411
	v_mul_u32_u24_dpp v66, v17, v54 row_newbcast:8 row_mask:0xf bank_mask:0xf// 000000011ADC: 10846CFA FF015811
	v_mul_u32_u24_dpp v67, v17, v54 row_newbcast:12 row_mask:0xf bank_mask:0xf// 000000011AE4: 10866CFA FF015C11
	v_add_u32_e32 v26, v64, v5                                 // 000000011AEC: 68340B40
	v_add_u32_e32 v27, v65, v5                                 // 000000011AF0: 68360B41
	v_add_u32_e32 v28, v66, v5                                 // 000000011AF4: 68380B42
	v_add_u32_e32 v29, v67, v5                                 // 000000011AF8: 683A0B43
	v_mul_u32_u24_dpp v64, v17, v63 quad_perm:[0,0,0,0] row_mask:0xf bank_mask:0xf// 000000011AFC: 10807EFA FF000011
	v_add_u32_e32 v3, v64, v59                                 // 000000011B04: 68067740
	v_mul_u32_u24_dpp v64, v17, v63 quad_perm:[0,0,0,0] row_mask:0xf bank_mask:0xf// 000000011B08: 10807EFA FF000011
	v_add_u32_e32 v56, v64, v60                                // 000000011B10: 68707940
	v_mfma_f32_16x16x32_fp8_fp8 v[112:115], a[0:1], v[80:81], 0// 000000011B14: D3F30070 0A02A100
	buffer_load_dwordx4 a[32:35], v26, s[16:19], 0 offen       // 000000011B1C: E05C1000 8084201A
	v_mfma_f32_16x16x32_fp8_fp8 v[112:115], a[2:3], v[82:83], v[112:115]// 000000011B24: D3F30070 0DC2A502
	v_mfma_f32_16x16x32_fp8_fp8 v[112:115], a[4:5], v[84:85], v[112:115]// 000000011B2C: D3F30070 0DC2A904
	buffer_load_dword v16, v1, s[24:27], 0 offen               // 000000011B34: E0501000 80061001
	v_mfma_f32_16x16x32_fp8_fp8 v[112:115], a[6:7], v[86:87], v[112:115]// 000000011B3C: D3F30070 0DC2AD06
	v_mfma_f32_16x16x32_fp8_fp8 v[116:119], a[8:9], v[80:81], 0// 000000011B44: D3F30074 0A02A108
	buffer_load_dwordx4 a[36:39], v26, s[16:19], 0 offen offset:1024// 000000011B4C: E05C1400 8084241A
	v_mfma_f32_16x16x32_fp8_fp8 v[116:119], a[10:11], v[82:83], v[116:119]// 000000011B54: D3F30074 0DD2A50A
	v_mfma_f32_16x16x32_fp8_fp8 v[116:119], a[12:13], v[84:85], v[116:119]// 000000011B5C: D3F30074 0DD2A90C
	v_mfma_f32_16x16x32_fp8_fp8 v[116:119], a[14:15], v[86:87], v[116:119]// 000000011B64: D3F30074 0DD2AD0E
	v_mfma_f32_16x16x32_fp8_fp8 v[120:123], a[16:17], v[80:81], 0// 000000011B6C: D3F30078 0A02A110
	buffer_load_dwordx4 a[40:43], v27, s[16:19], 0 offen       // 000000011B74: E05C1000 8084281B
	v_mfma_f32_16x16x32_fp8_fp8 v[120:123], a[18:19], v[82:83], v[120:123]// 000000011B7C: D3F30078 0DE2A512
	v_mfma_f32_16x16x32_fp8_fp8 v[120:123], a[20:21], v[84:85], v[120:123]// 000000011B84: D3F30078 0DE2A914
	v_mfma_f32_16x16x32_fp8_fp8 v[120:123], a[22:23], v[86:87], v[120:123]// 000000011B8C: D3F30078 0DE2AD16
	v_mfma_f32_16x16x32_fp8_fp8 v[124:127], a[24:25], v[80:81], 0// 000000011B94: D3F3007C 0A02A118
	buffer_load_dwordx4 a[44:47], v27, s[16:19], 0 offen offset:1024// 000000011B9C: E05C1400 80842C1B
	v_mfma_f32_16x16x32_fp8_fp8 v[124:127], a[26:27], v[82:83], v[124:127]// 000000011BA4: D3F3007C 0DF2A51A
	v_mfma_f32_16x16x32_fp8_fp8 v[124:127], a[28:29], v[84:85], v[124:127]// 000000011BAC: D3F3007C 0DF2A91C
	v_mfma_f32_16x16x32_fp8_fp8 v[124:127], a[30:31], v[86:87], v[124:127]// 000000011BB4: D3F3007C 0DF2AD1E
	v_mfma_f32_16x16x32_fp8_fp8 v[128:131], a[0:1], v[88:89], 0// 000000011BBC: D3F30080 0A02B100
	v_mfma_f32_16x16x32_fp8_fp8 v[128:131], a[2:3], v[90:91], v[128:131]// 000000011BC4: D3F30080 0E02B502
	v_mfma_f32_16x16x32_fp8_fp8 v[128:131], a[4:5], v[92:93], v[128:131]// 000000011BCC: D3F30080 0E02B904
	v_mfma_f32_16x16x32_fp8_fp8 v[128:131], a[6:7], v[94:95], v[128:131]// 000000011BD4: D3F30080 0E02BD06
	v_mfma_f32_16x16x32_fp8_fp8 v[132:135], a[8:9], v[88:89], 0// 000000011BDC: D3F30084 0A02B108
	v_mfma_f32_16x16x32_fp8_fp8 v[132:135], a[10:11], v[90:91], v[132:135]// 000000011BE4: D3F30084 0E12B50A
	v_mfma_f32_16x16x32_fp8_fp8 v[132:135], a[12:13], v[92:93], v[132:135]// 000000011BEC: D3F30084 0E12B90C
	v_mfma_f32_16x16x32_fp8_fp8 v[132:135], a[14:15], v[94:95], v[132:135]// 000000011BF4: D3F30084 0E12BD0E
	v_mfma_f32_16x16x32_fp8_fp8 v[136:139], a[16:17], v[88:89], 0// 000000011BFC: D3F30088 0A02B110
	v_mfma_f32_16x16x32_fp8_fp8 v[136:139], a[18:19], v[90:91], v[136:139]// 000000011C04: D3F30088 0E22B512
	v_mfma_f32_16x16x32_fp8_fp8 v[136:139], a[20:21], v[92:93], v[136:139]// 000000011C0C: D3F30088 0E22B914
	v_mfma_f32_16x16x32_fp8_fp8 v[136:139], a[22:23], v[94:95], v[136:139]// 000000011C14: D3F30088 0E22BD16
	v_mfma_f32_16x16x32_fp8_fp8 v[140:143], a[24:25], v[88:89], 0// 000000011C1C: D3F3008C 0A02B118
	v_mfma_f32_16x16x32_fp8_fp8 v[140:143], a[26:27], v[90:91], v[140:143]// 000000011C24: D3F3008C 0E32B51A
	v_mfma_f32_16x16x32_fp8_fp8 v[140:143], a[28:29], v[92:93], v[140:143]// 000000011C2C: D3F3008C 0E32B91C
	v_mfma_f32_16x16x32_fp8_fp8 v[140:143], a[30:31], v[94:95], v[140:143]// 000000011C34: D3F3008C 0E32BD1E
	v_mfma_f32_16x16x32_fp8_fp8 v[144:147], a[0:1], v[96:97], 0// 000000011C3C: D3F30090 0A02C100
	v_mfma_f32_16x16x32_fp8_fp8 v[144:147], a[2:3], v[98:99], v[144:147]// 000000011C44: D3F30090 0E42C502
	v_mfma_f32_16x16x32_fp8_fp8 v[144:147], a[4:5], v[100:101], v[144:147]// 000000011C4C: D3F30090 0E42C904
	v_mfma_f32_16x16x32_fp8_fp8 v[144:147], a[6:7], v[102:103], v[144:147]// 000000011C54: D3F30090 0E42CD06
	v_mfma_f32_16x16x32_fp8_fp8 v[148:151], a[8:9], v[96:97], 0// 000000011C5C: D3F30094 0A02C108
	v_mfma_f32_16x16x32_fp8_fp8 v[148:151], a[10:11], v[98:99], v[148:151]// 000000011C64: D3F30094 0E52C50A
	v_mfma_f32_16x16x32_fp8_fp8 v[148:151], a[12:13], v[100:101], v[148:151]// 000000011C6C: D3F30094 0E52C90C
	v_mfma_f32_16x16x32_fp8_fp8 v[148:151], a[14:15], v[102:103], v[148:151]// 000000011C74: D3F30094 0E52CD0E
	v_mfma_f32_16x16x32_fp8_fp8 v[152:155], a[16:17], v[96:97], 0// 000000011C7C: D3F30098 0A02C110
	v_mfma_f32_16x16x32_fp8_fp8 v[152:155], a[18:19], v[98:99], v[152:155]// 000000011C84: D3F30098 0E62C512
	v_mfma_f32_16x16x32_fp8_fp8 v[152:155], a[20:21], v[100:101], v[152:155]// 000000011C8C: D3F30098 0E62C914
	v_mfma_f32_16x16x32_fp8_fp8 v[152:155], a[22:23], v[102:103], v[152:155]// 000000011C94: D3F30098 0E62CD16
	v_mfma_f32_16x16x32_fp8_fp8 v[156:159], a[24:25], v[96:97], 0// 000000011C9C: D3F3009C 0A02C118
	v_mfma_f32_16x16x32_fp8_fp8 v[156:159], a[26:27], v[98:99], v[156:159]// 000000011CA4: D3F3009C 0E72C51A
	v_mfma_f32_16x16x32_fp8_fp8 v[156:159], a[28:29], v[100:101], v[156:159]// 000000011CAC: D3F3009C 0E72C91C
	v_mfma_f32_16x16x32_fp8_fp8 v[156:159], a[30:31], v[102:103], v[156:159]// 000000011CB4: D3F3009C 0E72CD1E
	buffer_load_dword v43, v3, s[32:35], 0 offen               // 000000011CBC: E0501000 80082B03
	v_mov_b32_dpp v64, v42 row_shr:4 row_mask:0xf bank_mask:0xf// 000000011CC4: 7E8002FA FF01142A
	v_mov_b32_dpp v65, v42 row_shl:4 row_mask:0xf bank_mask:0xf// 000000011CCC: 7E8202FA FF01042A
	v_cndmask_b32_e64 v248, v42, v64, s[44:45]                 // 000000011CD4: D10000F8 00B2812A
	v_cndmask_b32_e64 v249, v65, v42, s[44:45]                 // 000000011CDC: D10000F9 00B25541
	v_mov_b32_dpp v64, v248 row_shr:8 row_mask:0xf bank_mask:0xf// 000000011CE4: 7E8002FA FF0118F8
	v_mov_b32_dpp v65, v248 row_shl:8 row_mask:0xf bank_mask:0xf// 000000011CEC: 7E8202FA FF0108F8
	v_mov_b32_dpp v66, v249 row_shr:8 row_mask:0xf bank_mask:0xf// 000000011CF4: 7E8402FA FF0118F9
	v_mov_b32_dpp v67, v249 row_shl:8 row_mask:0xf bank_mask:0xf// 000000011CFC: 7E8602FA FF0108F9
	v_mov_b32_e32 v68, v248                                    // 000000011D04: 7E8803F8
	v_mov_b32_e32 v69, v249                                    // 000000011D08: 7E8A03F9
	v_cndmask_b32_e64 v248, v68, v64, s[42:43]                 // 000000011D0C: D10000F8 00AA8144
	v_cndmask_b32_e64 v250, v68, v65, s[78:79]                 // 000000011D14: D10000FA 013A8344
	v_cndmask_b32_e64 v249, v69, v66, s[42:43]                 // 000000011D1C: D10000F9 00AA8545
	v_cndmask_b32_e64 v251, v69, v67, s[78:79]                 // 000000011D24: D10000FB 013A8745
	v_mov_b32_dpp v64, v57 row_shr:4 row_mask:0xf bank_mask:0xf// 000000011D2C: 7E8002FA FF011439
	v_mov_b32_dpp v65, v57 row_shl:4 row_mask:0xf bank_mask:0xf// 000000011D34: 7E8202FA FF010439
	v_cndmask_b32_e64 v252, v57, v64, s[44:45]                 // 000000011D3C: D10000FC 00B28139
	v_cndmask_b32_e64 v253, v65, v57, s[44:45]                 // 000000011D44: D10000FD 00B27341
	v_mov_b32_dpp v64, v252 row_shr:8 row_mask:0xf bank_mask:0xf// 000000011D4C: 7E8002FA FF0118FC
	v_mov_b32_dpp v65, v252 row_shl:8 row_mask:0xf bank_mask:0xf// 000000011D54: 7E8202FA FF0108FC
	v_mov_b32_dpp v66, v253 row_shr:8 row_mask:0xf bank_mask:0xf// 000000011D5C: 7E8402FA FF0118FD
	v_mov_b32_dpp v67, v253 row_shl:8 row_mask:0xf bank_mask:0xf// 000000011D64: 7E8602FA FF0108FD
	v_mov_b32_e32 v68, v252                                    // 000000011D6C: 7E8803FC
	v_mov_b32_e32 v69, v253                                    // 000000011D70: 7E8A03FD
	v_cndmask_b32_e64 v252, v68, v64, s[42:43]                 // 000000011D74: D10000FC 00AA8144
	v_cndmask_b32_e64 v254, v68, v65, s[78:79]                 // 000000011D7C: D10000FE 013A8344
	v_cndmask_b32_e64 v253, v69, v66, s[42:43]                 // 000000011D84: D10000FD 00AA8545
	v_cndmask_b32_e64 v255, v69, v67, s[78:79]                 // 000000011D8C: D10000FF 013A8745
	buffer_load_dword v58, v56, s[36:39], 0 offen              // 000000011D94: E0501000 80093A38
	v_mul_f32_e32 v112, v18, v112                              // 000000011D9C: 0AE0E112
	v_mul_f32_e32 v113, v18, v113                              // 000000011DA0: 0AE2E312
	v_mul_f32_e32 v114, v18, v114                              // 000000011DA4: 0AE4E512
	v_mul_f32_e32 v115, v18, v115                              // 000000011DA8: 0AE6E712
	v_mul_f32_e32 v116, v18, v116                              // 000000011DAC: 0AE8E912
	v_mul_f32_e32 v117, v18, v117                              // 000000011DB0: 0AEAEB12
	v_mul_f32_e32 v118, v18, v118                              // 000000011DB4: 0AECED12
	v_mul_f32_e32 v119, v18, v119                              // 000000011DB8: 0AEEEF12
	v_mul_f32_e32 v120, v18, v120                              // 000000011DBC: 0AF0F112
	v_mul_f32_e32 v121, v18, v121                              // 000000011DC0: 0AF2F312
	v_mul_f32_e32 v122, v18, v122                              // 000000011DC4: 0AF4F512
	v_mul_f32_e32 v123, v18, v123                              // 000000011DC8: 0AF6F712
	v_mul_f32_e32 v124, v18, v124                              // 000000011DCC: 0AF8F912
	v_mul_f32_e32 v125, v18, v125                              // 000000011DD0: 0AFAFB12
	v_mul_f32_e32 v126, v18, v126                              // 000000011DD4: 0AFCFD12
	v_mul_f32_e32 v127, v18, v127                              // 000000011DD8: 0AFEFF12
	buffer_load_dwordx4 a[48:51], v28, s[16:19], 0 offen       // 000000011DDC: E05C1000 8084301C
	v_mul_f32_dpp v112, v248, v112 quad_perm:[0,0,0,0] row_mask:0xf bank_mask:0xf// 000000011DE4: 0AE0E0FA FF0000F8
	v_mul_f32_dpp v113, v248, v113 quad_perm:[1,1,1,1] row_mask:0xf bank_mask:0xf// 000000011DEC: 0AE2E2FA FF0055F8
	v_mul_f32_dpp v114, v248, v114 quad_perm:[2,2,2,2] row_mask:0xf bank_mask:0xf// 000000011DF4: 0AE4E4FA FF00AAF8
	v_mul_f32_dpp v115, v248, v115 quad_perm:[3,3,3,3] row_mask:0xf bank_mask:0xf// 000000011DFC: 0AE6E6FA FF00FFF8
	v_mul_f32_dpp v116, v249, v116 quad_perm:[0,0,0,0] row_mask:0xf bank_mask:0xf// 000000011E04: 0AE8E8FA FF0000F9
	v_mul_f32_dpp v117, v249, v117 quad_perm:[1,1,1,1] row_mask:0xf bank_mask:0xf// 000000011E0C: 0AEAEAFA FF0055F9
	v_mul_f32_dpp v118, v249, v118 quad_perm:[2,2,2,2] row_mask:0xf bank_mask:0xf// 000000011E14: 0AECECFA FF00AAF9
	v_mul_f32_dpp v119, v249, v119 quad_perm:[3,3,3,3] row_mask:0xf bank_mask:0xf// 000000011E1C: 0AEEEEFA FF00FFF9
	v_mul_f32_dpp v120, v250, v120 quad_perm:[0,0,0,0] row_mask:0xf bank_mask:0xf// 000000011E24: 0AF0F0FA FF0000FA
	v_mul_f32_dpp v121, v250, v121 quad_perm:[1,1,1,1] row_mask:0xf bank_mask:0xf// 000000011E2C: 0AF2F2FA FF0055FA
	v_mul_f32_dpp v122, v250, v122 quad_perm:[2,2,2,2] row_mask:0xf bank_mask:0xf// 000000011E34: 0AF4F4FA FF00AAFA
	v_mul_f32_dpp v123, v250, v123 quad_perm:[3,3,3,3] row_mask:0xf bank_mask:0xf// 000000011E3C: 0AF6F6FA FF00FFFA
	v_mul_f32_dpp v124, v251, v124 quad_perm:[0,0,0,0] row_mask:0xf bank_mask:0xf// 000000011E44: 0AF8F8FA FF0000FB
	v_mul_f32_dpp v125, v251, v125 quad_perm:[1,1,1,1] row_mask:0xf bank_mask:0xf// 000000011E4C: 0AFAFAFA FF0055FB
	v_mul_f32_dpp v126, v251, v126 quad_perm:[2,2,2,2] row_mask:0xf bank_mask:0xf// 000000011E54: 0AFCFCFA FF00AAFB
	v_mul_f32_dpp v127, v251, v127 quad_perm:[3,3,3,3] row_mask:0xf bank_mask:0xf// 000000011E5C: 0AFEFEFA FF00FFFB
	buffer_load_dwordx4 a[52:55], v28, s[16:19], 0 offen offset:1024// 000000011E64: E05C1400 8084341C
	v_mov_b32_e32 v48, v112                                    // 000000011E6C: 7E600370
	v_max3_f32 v48, v112, v113, v48                            // 000000011E70: D1D30030 04C2E370
	v_max3_f32 v48, v114, v115, v48                            // 000000011E78: D1D30030 04C2E772
	v_max3_f32 v48, v116, v117, v48                            // 000000011E80: D1D30030 04C2EB74
	v_max3_f32 v48, v118, v119, v48                            // 000000011E88: D1D30030 04C2EF76
	v_max3_f32 v48, v120, v121, v48                            // 000000011E90: D1D30030 04C2F378
	v_max3_f32 v48, v122, v123, v48                            // 000000011E98: D1D30030 04C2F77A
	v_max3_f32 v48, v124, v125, v48                            // 000000011EA0: D1D30030 04C2FB7C
	v_max3_f32 v48, v126, v127, v48                            // 000000011EA8: D1D30030 04C2FF7E
	ds_write_b32 v8, v48 offset:16896                          // 000000011EB0: D81A4200 00003008
	buffer_load_dwordx4 a[56:59], v29, s[16:19], 0 offen       // 000000011EB8: E05C1000 8084381D
	v_mul_u32_u24_dpp v64, v17, v54 row_newbcast:1 row_mask:0xf bank_mask:0xf// 000000011EC0: 10806CFA FF015111
	v_mul_u32_u24_dpp v65, v17, v54 row_newbcast:5 row_mask:0xf bank_mask:0xf// 000000011EC8: 10826CFA FF015511
	v_mul_u32_u24_dpp v66, v17, v54 row_newbcast:9 row_mask:0xf bank_mask:0xf// 000000011ED0: 10846CFA FF015911
	v_mul_u32_u24_dpp v67, v17, v54 row_newbcast:13 row_mask:0xf bank_mask:0xf// 000000011ED8: 10866CFA FF015D11
	v_add_u32_e32 v34, v64, v6                                 // 000000011EE0: 68440D40
	v_add_u32_e32 v35, v65, v6                                 // 000000011EE4: 68460D41
	v_add_u32_e32 v36, v66, v6                                 // 000000011EE8: 68480D42
	v_add_u32_e32 v37, v67, v6                                 // 000000011EEC: 684A0D43
	v_mul_f32_e32 v208, v49, v208                              // 000000011EF0: 0BA1A131
	v_mul_f32_e32 v209, v49, v209                              // 000000011EF4: 0BA3A331
	v_mul_f32_e32 v210, v49, v210                              // 000000011EF8: 0BA5A531
	v_mul_f32_e32 v211, v49, v211                              // 000000011EFC: 0BA7A731
	v_mul_f32_e32 v212, v49, v212                              // 000000011F00: 0BA9A931
	v_mul_f32_e32 v213, v49, v213                              // 000000011F04: 0BABAB31
	v_mul_f32_e32 v214, v49, v214                              // 000000011F08: 0BADAD31
	v_mul_f32_e32 v215, v49, v215                              // 000000011F0C: 0BAFAF31
	s_waitcnt lgkmcnt(0)                                       // 000000011F10: BF8CC07F
	s_barrier                                                  // 000000011F14: BF8A0000
	ds_read_b32 v64, v7 offset:16896                           // 000000011F18: D86C4200 40000007
	ds_read_b32 v65, v7 offset:16960                           // 000000011F20: D86C4240 41000007
	ds_read_b32 v66, v7 offset:17024                           // 000000011F28: D86C4280 42000007
	ds_read_b32 v67, v7 offset:17088                           // 000000011F30: D86C42C0 43000007
	ds_read_b32 v68, v7 offset:17152                           // 000000011F38: D86C4300 44000007
	ds_read_b32 v69, v7 offset:17216                           // 000000011F40: D86C4340 45000007
	ds_read_b32 v70, v7 offset:17280                           // 000000011F48: D86C4380 46000007
	ds_read_b32 v71, v7 offset:17344                           // 000000011F50: D86C43C0 47000007
	ds_read_b32 v72, v7 offset:17408                           // 000000011F58: D86C4400 48000007
	ds_read_b32 v73, v7 offset:17472                           // 000000011F60: D86C4440 49000007
	ds_read_b32 v74, v7 offset:17536                           // 000000011F68: D86C4480 4A000007
	ds_read_b32 v75, v7 offset:17600                           // 000000011F70: D86C44C0 4B000007
	ds_read_b32 v76, v7 offset:17664                           // 000000011F78: D86C4500 4C000007
	ds_read_b32 v77, v7 offset:17728                           // 000000011F80: D86C4540 4D000007
	ds_read_b32 v78, v7 offset:17792                           // 000000011F88: D86C4580 4E000007
	ds_read_b32 v79, v7 offset:17856                           // 000000011F90: D86C45C0 4F000007
	buffer_load_dwordx4 a[60:63], v29, s[16:19], 0 offen offset:1024// 000000011F98: E05C1400 80843C1D
	v_mul_f32_e32 v176, v44, v176                              // 000000011FA0: 0B61612C
	v_mul_f32_e32 v177, v44, v177                              // 000000011FA4: 0B63632C
	v_mul_f32_e32 v178, v44, v178                              // 000000011FA8: 0B65652C
	v_mul_f32_e32 v179, v44, v179                              // 000000011FAC: 0B67672C
	v_mul_f32_e32 v180, v44, v180                              // 000000011FB0: 0B69692C
	v_mul_f32_e32 v181, v44, v181                              // 000000011FB4: 0B6B6B2C
	v_mul_f32_e32 v182, v44, v182                              // 000000011FB8: 0B6D6D2C
	v_mul_f32_e32 v183, v44, v183                              // 000000011FBC: 0B6F6F2C
	s_waitcnt lgkmcnt(0)                                       // 000000011FC0: BF8CC07F
	v_max3_f32 v48, v64, v65, v48                              // 000000011FC4: D1D30030 04C28340
	v_max3_f32 v48, v66, v67, v48                              // 000000011FCC: D1D30030 04C28742
	v_max3_f32 v48, v68, v69, v48                              // 000000011FD4: D1D30030 04C28B44
	v_max3_f32 v48, v70, v71, v48                              // 000000011FDC: D1D30030 04C28F46
	v_max3_f32 v48, v72, v73, v48                              // 000000011FE4: D1D30030 04C29348
	v_max3_f32 v48, v74, v75, v48                              // 000000011FEC: D1D30030 04C2974A
	v_max3_f32 v48, v76, v77, v48                              // 000000011FF4: D1D30030 04C29B4C
	v_max3_f32 v48, v78, v79, v48                              // 000000011FFC: D1D30030 04C29F4E
	buffer_load_dwordx4 a[96:99], v34, s[20:23], 0 offen       // 000000012004: E05C1000 80856022
	v_mov_b32_e32 v64, 0xff800000                              // 00000001200C: 7E8002FF FF800000
	v_cmp_eq_u32_e64 s[40:41], v64, v11                        // 000000012014: D0CA0028 00021740
	s_nop 1                                                    // 00000001201C: BF800001
	v_max_f32_e32 v15, v48, v11                                // 000000012020: 161E1730
	v_mul_f32_e32 v53, s64, v15                                // 000000012024: 0A6A1E40
	v_fma_f32 v112, v112, s64, -v53                            // 000000012028: D1CB0070 84D48170
	v_fma_f32 v113, v113, s64, -v53                            // 000000012030: D1CB0071 84D48171
	v_fma_f32 v114, v114, s64, -v53                            // 000000012038: D1CB0072 84D48172
	v_fma_f32 v115, v115, s64, -v53                            // 000000012040: D1CB0073 84D48173
	v_fma_f32 v116, v116, s64, -v53                            // 000000012048: D1CB0074 84D48174
	v_fma_f32 v117, v117, s64, -v53                            // 000000012050: D1CB0075 84D48175
	v_fma_f32 v118, v118, s64, -v53                            // 000000012058: D1CB0076 84D48176
	v_fma_f32 v119, v119, s64, -v53                            // 000000012060: D1CB0077 84D48177
	v_fma_f32 v120, v120, s64, -v53                            // 000000012068: D1CB0078 84D48178
	v_fma_f32 v121, v121, s64, -v53                            // 000000012070: D1CB0079 84D48179
	v_fma_f32 v122, v122, s64, -v53                            // 000000012078: D1CB007A 84D4817A
	v_fma_f32 v123, v123, s64, -v53                            // 000000012080: D1CB007B 84D4817B
	v_fma_f32 v124, v124, s64, -v53                            // 000000012088: D1CB007C 84D4817C
	v_fma_f32 v125, v125, s64, -v53                            // 000000012090: D1CB007D 84D4817D
	v_fma_f32 v126, v126, s64, -v53                            // 000000012098: D1CB007E 84D4817E
	v_fma_f32 v127, v127, s64, -v53                            // 0000000120A0: D1CB007F 84D4817F
	buffer_load_dwordx4 a[100:103], v35, s[20:23], 0 offen     // 0000000120A8: E05C1000 80856423
	v_exp_f32_e32 v112, v112                                   // 0000000120B0: 7EE04170
	v_exp_f32_e32 v113, v113                                   // 0000000120B4: 7EE24171
	v_exp_f32_e32 v114, v114                                   // 0000000120B8: 7EE44172
	v_exp_f32_e32 v115, v115                                   // 0000000120BC: 7EE64173
	v_exp_f32_e32 v116, v116                                   // 0000000120C0: 7EE84174
	v_exp_f32_e32 v117, v117                                   // 0000000120C4: 7EEA4175
	v_exp_f32_e32 v118, v118                                   // 0000000120C8: 7EEC4176
	v_exp_f32_e32 v119, v119                                   // 0000000120CC: 7EEE4177
	v_exp_f32_e32 v120, v120                                   // 0000000120D0: 7EF04178
	v_exp_f32_e32 v121, v121                                   // 0000000120D4: 7EF24179
	v_exp_f32_e32 v122, v122                                   // 0000000120D8: 7EF4417A
	v_exp_f32_e32 v123, v123                                   // 0000000120DC: 7EF6417B
	v_exp_f32_e32 v124, v124                                   // 0000000120E0: 7EF8417C
	v_exp_f32_e32 v125, v125                                   // 0000000120E4: 7EFA417D
	v_exp_f32_e32 v126, v126                                   // 0000000120E8: 7EFC417E
	v_exp_f32_e32 v127, v127                                   // 0000000120EC: 7EFE417F
	buffer_load_dwordx4 a[104:107], v36, s[20:23], 0 offen     // 0000000120F0: E05C1000 80856824
	v_mul_f32_dpp v240, v252, v112 quad_perm:[0,0,0,0] row_mask:0xf bank_mask:0xf// 0000000120F8: 0BE0E0FA FF0000FC
	v_mul_f32_dpp v241, v252, v113 quad_perm:[1,1,1,1] row_mask:0xf bank_mask:0xf// 000000012100: 0BE2E2FA FF0055FC
	v_mul_f32_dpp v242, v252, v114 quad_perm:[2,2,2,2] row_mask:0xf bank_mask:0xf// 000000012108: 0BE4E4FA FF00AAFC
	v_mul_f32_dpp v243, v252, v115 quad_perm:[3,3,3,3] row_mask:0xf bank_mask:0xf// 000000012110: 0BE6E6FA FF00FFFC
	v_mul_f32_dpp v244, v253, v116 quad_perm:[0,0,0,0] row_mask:0xf bank_mask:0xf// 000000012118: 0BE8E8FA FF0000FD
	v_mul_f32_dpp v245, v253, v117 quad_perm:[1,1,1,1] row_mask:0xf bank_mask:0xf// 000000012120: 0BEAEAFA FF0055FD
	v_mul_f32_dpp v246, v253, v118 quad_perm:[2,2,2,2] row_mask:0xf bank_mask:0xf// 000000012128: 0BECECFA FF00AAFD
	v_mul_f32_dpp v247, v253, v119 quad_perm:[3,3,3,3] row_mask:0xf bank_mask:0xf// 000000012130: 0BEEEEFA FF00FFFD
	v_mul_f32_dpp v248, v254, v120 quad_perm:[0,0,0,0] row_mask:0xf bank_mask:0xf// 000000012138: 0BF0F0FA FF0000FE
	v_mul_f32_dpp v249, v254, v121 quad_perm:[1,1,1,1] row_mask:0xf bank_mask:0xf// 000000012140: 0BF2F2FA FF0055FE
	v_mul_f32_dpp v250, v254, v122 quad_perm:[2,2,2,2] row_mask:0xf bank_mask:0xf// 000000012148: 0BF4F4FA FF00AAFE
	v_mul_f32_dpp v251, v254, v123 quad_perm:[3,3,3,3] row_mask:0xf bank_mask:0xf// 000000012150: 0BF6F6FA FF00FFFE
	v_mul_f32_dpp v252, v255, v124 quad_perm:[0,0,0,0] row_mask:0xf bank_mask:0xf// 000000012158: 0BF8F8FA FF0000FF
	v_mul_f32_dpp v253, v255, v125 quad_perm:[1,1,1,1] row_mask:0xf bank_mask:0xf// 000000012160: 0BFAFAFA FF0055FF
	v_mul_f32_dpp v254, v255, v126 quad_perm:[2,2,2,2] row_mask:0xf bank_mask:0xf// 000000012168: 0BFCFCFA FF00AAFF
	v_mul_f32_dpp v255, v255, v127 quad_perm:[3,3,3,3] row_mask:0xf bank_mask:0xf// 000000012170: 0BFEFEFA FF00FFFF
	v_mov_b32_e32 v48, 0x358637bd                              // 000000012178: 7E6002FF 358637BD
	v_max3_f32 v48, |v240|, |v241|, v48                        // 000000012180: D1D30330 04C3E3F0
	v_max3_f32 v48, |v242|, |v243|, v48                        // 000000012188: D1D30330 04C3E7F2
	v_max3_f32 v48, |v244|, |v245|, v48                        // 000000012190: D1D30330 04C3EBF4
	v_max3_f32 v48, |v246|, |v247|, v48                        // 000000012198: D1D30330 04C3EFF6
	v_max3_f32 v48, |v248|, |v249|, v48                        // 0000000121A0: D1D30330 04C3F3F8
	v_max3_f32 v48, |v250|, |v251|, v48                        // 0000000121A8: D1D30330 04C3F7FA
	v_max3_f32 v48, |v252|, |v253|, v48                        // 0000000121B0: D1D30330 04C3FBFC
	v_max3_f32 v48, |v254|, |v255|, v48                        // 0000000121B8: D1D30330 04C3FFFE
	buffer_load_dwordx4 a[108:111], v37, s[20:23], 0 offen     // 0000000121C0: E05C1000 80856C25
	ds_write_b32 v8, v48 offset:20992                          // 0000000121C8: D81A5200 00003008
	v_sub_f32_e32 v49, v11, v15                                // 0000000121D0: 04621F0B
	v_cndmask_b32_e64 v49, v49, 0, s[40:41]                    // 0000000121D4: D1000031 00A10131
	v_mov_b32_e32 v11, v15                                     // 0000000121DC: 7E16030F
	v_mul_f32_e32 v49, s64, v49                                // 0000000121E0: 0A626240
	v_exp_f32_e32 v49, v49                                     // 0000000121E4: 7E624131
	s_waitcnt lgkmcnt(0)                                       // 0000000121E8: BF8CC07F
	s_barrier                                                  // 0000000121EC: BF8A0000
	ds_read_b32 v64, v7 offset:20992                           // 0000000121F0: D86C5200 40000007
	ds_read_b32 v65, v7 offset:21056                           // 0000000121F8: D86C5240 41000007
	ds_read_b32 v66, v7 offset:21120                           // 000000012200: D86C5280 42000007
	ds_read_b32 v67, v7 offset:21184                           // 000000012208: D86C52C0 43000007
	ds_read_b32 v68, v7 offset:21248                           // 000000012210: D86C5300 44000007
	ds_read_b32 v69, v7 offset:21312                           // 000000012218: D86C5340 45000007
	ds_read_b32 v70, v7 offset:21376                           // 000000012220: D86C5380 46000007
	ds_read_b32 v71, v7 offset:21440                           // 000000012228: D86C53C0 47000007
	ds_read_b32 v72, v7 offset:21504                           // 000000012230: D86C5400 48000007
	ds_read_b32 v73, v7 offset:21568                           // 000000012238: D86C5440 49000007
	ds_read_b32 v74, v7 offset:21632                           // 000000012240: D86C5480 4A000007
	ds_read_b32 v75, v7 offset:21696                           // 000000012248: D86C54C0 4B000007
	ds_read_b32 v76, v7 offset:21760                           // 000000012250: D86C5500 4C000007
	ds_read_b32 v77, v7 offset:21824                           // 000000012258: D86C5540 4D000007
	ds_read_b32 v78, v7 offset:21888                           // 000000012260: D86C5580 4E000007
	ds_read_b32 v79, v7 offset:21952                           // 000000012268: D86C55C0 4F000007
	v_mul_f32_e32 v38, v49, v38                                // 000000012270: 0A4C4D31
	v_mov_b32_e32 v15, v112                                    // 000000012274: 7E1E0370
	v_add_f32_e32 v15, v113, v15                               // 000000012278: 021E1F71
	v_add_f32_e32 v15, v114, v15                               // 00000001227C: 021E1F72
	v_add_f32_e32 v15, v115, v15                               // 000000012280: 021E1F73
	v_add_f32_e32 v15, v116, v15                               // 000000012284: 021E1F74
	v_add_f32_e32 v15, v117, v15                               // 000000012288: 021E1F75
	v_add_f32_e32 v15, v118, v15                               // 00000001228C: 021E1F76
	v_add_f32_e32 v15, v119, v15                               // 000000012290: 021E1F77
	v_add_f32_e32 v15, v120, v15                               // 000000012294: 021E1F78
	v_add_f32_e32 v15, v121, v15                               // 000000012298: 021E1F79
	v_add_f32_e32 v15, v122, v15                               // 00000001229C: 021E1F7A
	v_add_f32_e32 v15, v123, v15                               // 0000000122A0: 021E1F7B
	v_add_f32_e32 v15, v124, v15                               // 0000000122A4: 021E1F7C
	v_add_f32_e32 v15, v125, v15                               // 0000000122A8: 021E1F7D
	v_add_f32_e32 v15, v126, v15                               // 0000000122AC: 021E1F7E
	v_add_f32_e32 v15, v127, v15                               // 0000000122B0: 021E1F7F
	v_add_f32_e32 v38, v15, v38                                // 0000000122B4: 024C4D0F
	s_waitcnt lgkmcnt(0)                                       // 0000000122B8: BF8CC07F
	v_max3_f32 v48, |v64|, |v65|, v48                          // 0000000122BC: D1D30330 04C28340
	v_max3_f32 v48, |v66|, |v67|, v48                          // 0000000122C4: D1D30330 04C28742
	v_max3_f32 v48, |v68|, |v69|, v48                          // 0000000122CC: D1D30330 04C28B44
	v_max3_f32 v48, |v70|, |v71|, v48                          // 0000000122D4: D1D30330 04C28F46
	v_max3_f32 v48, |v72|, |v73|, v48                          // 0000000122DC: D1D30330 04C29348
	v_max3_f32 v48, |v74|, |v75|, v48                          // 0000000122E4: D1D30330 04C2974A
	v_max3_f32 v48, |v76|, |v77|, v48                          // 0000000122EC: D1D30330 04C29B4C
	v_max3_f32 v48, |v78|, |v79|, v48                          // 0000000122F4: D1D30330 04C29F4E
	s_nop 2                                                    // 0000000122FC: BF800002
	v_rcp_f32_e32 v48, v48                                     // 000000012300: 7E604530
	s_nop 1                                                    // 000000012304: BF800001
	v_mul_f32_e32 v48, 0x43e00000, v48                         // 000000012308: 0A6060FF 43E00000
	v_mul_f32_e32 v112, v48, v240                              // 000000012310: 0AE1E130
	v_mul_f32_e32 v113, v48, v241                              // 000000012314: 0AE3E330
	v_mul_f32_e32 v114, v48, v242                              // 000000012318: 0AE5E530
	v_mul_f32_e32 v115, v48, v243                              // 00000001231C: 0AE7E730
	v_mul_f32_e32 v116, v48, v244                              // 000000012320: 0AE9E930
	v_mul_f32_e32 v117, v48, v245                              // 000000012324: 0AEBEB30
	v_mul_f32_e32 v118, v48, v246                              // 000000012328: 0AEDED30
	v_mul_f32_e32 v119, v48, v247                              // 00000001232C: 0AEFEF30
	v_mul_f32_e32 v120, v48, v248                              // 000000012330: 0AF1F130
	v_mul_f32_e32 v121, v48, v249                              // 000000012334: 0AF3F330
	v_mul_f32_e32 v122, v48, v250                              // 000000012338: 0AF5F530
	v_mul_f32_e32 v123, v48, v251                              // 00000001233C: 0AF7F730
	v_mul_f32_e32 v124, v48, v252                              // 000000012340: 0AF9F930
	v_mul_f32_e32 v125, v48, v253                              // 000000012344: 0AFBFB30
	v_mul_f32_e32 v126, v48, v254                              // 000000012348: 0AFDFD30
	v_mul_f32_e32 v127, v48, v255                              // 00000001234C: 0AFFFF30
	v_cvt_pk_fp8_f32 v112, v112, v113                          // 000000012350: D2A20070 0002E370
	v_cvt_pk_fp8_f32 v112, v114, v115 op_sel:[0,0,1]           // 000000012358: D2A24070 0002E772
	v_cvt_pk_fp8_f32 v113, v116, v117                          // 000000012360: D2A20071 0002EB74
	v_cvt_pk_fp8_f32 v113, v118, v119 op_sel:[0,0,1]           // 000000012368: D2A24071 0002EF76
	v_cvt_pk_fp8_f32 v114, v120, v121                          // 000000012370: D2A20072 0002F378
	v_cvt_pk_fp8_f32 v114, v122, v123 op_sel:[0,0,1]           // 000000012378: D2A24072 0002F77A
	v_cvt_pk_fp8_f32 v115, v124, v125                          // 000000012380: D2A20073 0002FB7C
	v_cvt_pk_fp8_f32 v115, v126, v127 op_sel:[0,0,1]           // 000000012388: D2A24073 0002FF7E
	ds_write_b32 v10, v112 offset:25088                        // 000000012390: D81A6200 0000700A
	ds_write_b32 v10, v113 offset:26112                        // 000000012398: D81A6600 0000710A
	ds_write_b32 v10, v114 offset:27136                        // 0000000123A0: D81A6A00 0000720A
	ds_write_b32 v10, v115 offset:28160                        // 0000000123A8: D81A6E00 0000730A
	v_add_f32_e32 v208, v208, v176                             // 0000000123B0: 03A161D0
	v_add_f32_e32 v209, v209, v177                             // 0000000123B4: 03A363D1
	v_add_f32_e32 v210, v210, v178                             // 0000000123B8: 03A565D2
	v_add_f32_e32 v211, v211, v179                             // 0000000123BC: 03A767D3
	v_add_f32_e32 v212, v212, v180                             // 0000000123C0: 03A969D4
	v_add_f32_e32 v213, v213, v181                             // 0000000123C4: 03AB6BD5
	v_add_f32_e32 v214, v214, v182                             // 0000000123C8: 03AD6DD6
	v_add_f32_e32 v215, v215, v183                             // 0000000123CC: 03AF6FD7
	v_rcp_f32_e32 v44, v48                                     // 0000000123D0: 7E584530
	s_waitcnt lgkmcnt(0)                                       // 0000000123D4: BF8CC07F
	s_barrier                                                  // 0000000123D8: BF8A0000
	ds_read_b64 v[112:113], v9 offset:25088                    // 0000000123DC: D8EC6200 70000009
	ds_read_b64 v[114:115], v9 offset:25216                    // 0000000123E4: D8EC6280 72000009
	ds_read_b64 v[116:117], v9 offset:26112                    // 0000000123EC: D8EC6600 74000009
	ds_read_b64 v[118:119], v9 offset:26240                    // 0000000123F4: D8EC6680 76000009
	ds_read_b64 v[120:121], v9 offset:27136                    // 0000000123FC: D8EC6A00 78000009
	ds_read_b64 v[122:123], v9 offset:27264                    // 000000012404: D8EC6A80 7A000009
	ds_read_b64 v[124:125], v9 offset:28160                    // 00000001240C: D8EC6E00 7C000009
	ds_read_b64 v[126:127], v9 offset:28288                    // 000000012414: D8EC6E80 7E000009
	v_mov_b32_dpp v64, v42 row_shr:4 row_mask:0xf bank_mask:0xf// 00000001241C: 7E8002FA FF01142A
	v_mov_b32_dpp v65, v42 row_shl:4 row_mask:0xf bank_mask:0xf// 000000012424: 7E8202FA FF01042A
	v_cndmask_b32_e64 v248, v42, v64, s[44:45]                 // 00000001242C: D10000F8 00B2812A
	v_cndmask_b32_e64 v249, v65, v42, s[44:45]                 // 000000012434: D10000F9 00B25541
	v_mov_b32_dpp v64, v248 row_shr:8 row_mask:0xf bank_mask:0xf// 00000001243C: 7E8002FA FF0118F8
	v_mov_b32_dpp v65, v248 row_shl:8 row_mask:0xf bank_mask:0xf// 000000012444: 7E8202FA FF0108F8
	v_mov_b32_dpp v66, v249 row_shr:8 row_mask:0xf bank_mask:0xf// 00000001244C: 7E8402FA FF0118F9
	v_mov_b32_dpp v67, v249 row_shl:8 row_mask:0xf bank_mask:0xf// 000000012454: 7E8602FA FF0108F9
	v_mov_b32_e32 v68, v248                                    // 00000001245C: 7E8803F8
	v_mov_b32_e32 v69, v249                                    // 000000012460: 7E8A03F9
	v_cndmask_b32_e64 v248, v68, v64, s[42:43]                 // 000000012464: D10000F8 00AA8144
	v_cndmask_b32_e64 v250, v68, v65, s[78:79]                 // 00000001246C: D10000FA 013A8344
	v_cndmask_b32_e64 v249, v69, v66, s[42:43]                 // 000000012474: D10000F9 00AA8545
	v_cndmask_b32_e64 v251, v69, v67, s[78:79]                 // 00000001247C: D10000FB 013A8745
	v_mov_b32_dpp v64, v57 row_shr:4 row_mask:0xf bank_mask:0xf// 000000012484: 7E8002FA FF011439
	v_mov_b32_dpp v65, v57 row_shl:4 row_mask:0xf bank_mask:0xf// 00000001248C: 7E8202FA FF010439
	v_cndmask_b32_e64 v252, v57, v64, s[44:45]                 // 000000012494: D10000FC 00B28139
	v_cndmask_b32_e64 v253, v65, v57, s[44:45]                 // 00000001249C: D10000FD 00B27341
	v_mov_b32_dpp v64, v252 row_shr:8 row_mask:0xf bank_mask:0xf// 0000000124A4: 7E8002FA FF0118FC
	v_mov_b32_dpp v65, v252 row_shl:8 row_mask:0xf bank_mask:0xf// 0000000124AC: 7E8202FA FF0108FC
	v_mov_b32_dpp v66, v253 row_shr:8 row_mask:0xf bank_mask:0xf// 0000000124B4: 7E8402FA FF0118FD
	v_mov_b32_dpp v67, v253 row_shl:8 row_mask:0xf bank_mask:0xf// 0000000124BC: 7E8602FA FF0108FD
	v_mov_b32_e32 v68, v252                                    // 0000000124C4: 7E8803FC
	v_mov_b32_e32 v69, v253                                    // 0000000124C8: 7E8A03FD
	v_cndmask_b32_e64 v252, v68, v64, s[42:43]                 // 0000000124CC: D10000FC 00AA8144
	v_cndmask_b32_e64 v254, v68, v65, s[78:79]                 // 0000000124D4: D10000FE 013A8344
	v_cndmask_b32_e64 v253, v69, v66, s[42:43]                 // 0000000124DC: D10000FD 00AA8545
	v_cndmask_b32_e64 v255, v69, v67, s[78:79]                 // 0000000124E4: D10000FF 013A8745
	v_mul_f32_e32 v128, v19, v128                              // 0000000124EC: 0B010113
	v_mul_f32_e32 v129, v19, v129                              // 0000000124F0: 0B030313
	v_mul_f32_e32 v130, v19, v130                              // 0000000124F4: 0B050513
	v_mul_f32_e32 v131, v19, v131                              // 0000000124F8: 0B070713
	v_mul_f32_e32 v132, v19, v132                              // 0000000124FC: 0B090913
	v_mul_f32_e32 v133, v19, v133                              // 000000012500: 0B0B0B13
	v_mul_f32_e32 v134, v19, v134                              // 000000012504: 0B0D0D13
	v_mul_f32_e32 v135, v19, v135                              // 000000012508: 0B0F0F13
	v_mul_f32_e32 v136, v19, v136                              // 00000001250C: 0B111113
	v_mul_f32_e32 v137, v19, v137                              // 000000012510: 0B131313
	v_mul_f32_e32 v138, v19, v138                              // 000000012514: 0B151513
	v_mul_f32_e32 v139, v19, v139                              // 000000012518: 0B171713
	v_mul_f32_e32 v140, v19, v140                              // 00000001251C: 0B191913
	v_mul_f32_e32 v141, v19, v141                              // 000000012520: 0B1B1B13
	v_mul_f32_e32 v142, v19, v142                              // 000000012524: 0B1D1D13
	v_mul_f32_e32 v143, v19, v143                              // 000000012528: 0B1F1F13
	v_mul_f32_dpp v128, v248, v128 quad_perm:[0,0,0,0] row_mask:0xf bank_mask:0xf// 00000001252C: 0B0100FA FF0000F8
	v_mul_f32_dpp v129, v248, v129 quad_perm:[1,1,1,1] row_mask:0xf bank_mask:0xf// 000000012534: 0B0302FA FF0055F8
	v_mul_f32_dpp v130, v248, v130 quad_perm:[2,2,2,2] row_mask:0xf bank_mask:0xf// 00000001253C: 0B0504FA FF00AAF8
	v_mul_f32_dpp v131, v248, v131 quad_perm:[3,3,3,3] row_mask:0xf bank_mask:0xf// 000000012544: 0B0706FA FF00FFF8
	v_mul_f32_dpp v132, v249, v132 quad_perm:[0,0,0,0] row_mask:0xf bank_mask:0xf// 00000001254C: 0B0908FA FF0000F9
	v_mul_f32_dpp v133, v249, v133 quad_perm:[1,1,1,1] row_mask:0xf bank_mask:0xf// 000000012554: 0B0B0AFA FF0055F9
	v_mul_f32_dpp v134, v249, v134 quad_perm:[2,2,2,2] row_mask:0xf bank_mask:0xf// 00000001255C: 0B0D0CFA FF00AAF9
	v_mul_f32_dpp v135, v249, v135 quad_perm:[3,3,3,3] row_mask:0xf bank_mask:0xf// 000000012564: 0B0F0EFA FF00FFF9
	v_mul_f32_dpp v136, v250, v136 quad_perm:[0,0,0,0] row_mask:0xf bank_mask:0xf// 00000001256C: 0B1110FA FF0000FA
	v_mul_f32_dpp v137, v250, v137 quad_perm:[1,1,1,1] row_mask:0xf bank_mask:0xf// 000000012574: 0B1312FA FF0055FA
	v_mul_f32_dpp v138, v250, v138 quad_perm:[2,2,2,2] row_mask:0xf bank_mask:0xf// 00000001257C: 0B1514FA FF00AAFA
	v_mul_f32_dpp v139, v250, v139 quad_perm:[3,3,3,3] row_mask:0xf bank_mask:0xf// 000000012584: 0B1716FA FF00FFFA
	v_mul_f32_dpp v140, v251, v140 quad_perm:[0,0,0,0] row_mask:0xf bank_mask:0xf// 00000001258C: 0B1918FA FF0000FB
	v_mul_f32_dpp v141, v251, v141 quad_perm:[1,1,1,1] row_mask:0xf bank_mask:0xf// 000000012594: 0B1B1AFA FF0055FB
	v_mul_f32_dpp v142, v251, v142 quad_perm:[2,2,2,2] row_mask:0xf bank_mask:0xf// 00000001259C: 0B1D1CFA FF00AAFB
	v_mul_f32_dpp v143, v251, v143 quad_perm:[3,3,3,3] row_mask:0xf bank_mask:0xf// 0000000125A4: 0B1F1EFA FF00FFFB
	v_mov_b32_e32 v48, v128                                    // 0000000125AC: 7E600380
	v_max3_f32 v48, v128, v129, v48                            // 0000000125B0: D1D30030 04C30380
	v_max3_f32 v48, v130, v131, v48                            // 0000000125B8: D1D30030 04C30782
	v_max3_f32 v48, v132, v133, v48                            // 0000000125C0: D1D30030 04C30B84
	v_max3_f32 v48, v134, v135, v48                            // 0000000125C8: D1D30030 04C30F86
	v_max3_f32 v48, v136, v137, v48                            // 0000000125D0: D1D30030 04C31388
	v_max3_f32 v48, v138, v139, v48                            // 0000000125D8: D1D30030 04C3178A
	v_max3_f32 v48, v140, v141, v48                            // 0000000125E0: D1D30030 04C31B8C
	v_max3_f32 v48, v142, v143, v48                            // 0000000125E8: D1D30030 04C31F8E
	ds_write_b32 v8, v48 offset:16896                          // 0000000125F0: D81A4200 00003008
	v_mul_f32_e32 v216, v50, v216                              // 0000000125F8: 0BB1B132
	v_mul_f32_e32 v217, v50, v217                              // 0000000125FC: 0BB3B332
	v_mul_f32_e32 v218, v50, v218                              // 000000012600: 0BB5B532
	v_mul_f32_e32 v219, v50, v219                              // 000000012604: 0BB7B732
	v_mul_f32_e32 v220, v50, v220                              // 000000012608: 0BB9B932
	v_mul_f32_e32 v221, v50, v221                              // 00000001260C: 0BBBBB32
	v_mul_f32_e32 v222, v50, v222                              // 000000012610: 0BBDBD32
	v_mul_f32_e32 v223, v50, v223                              // 000000012614: 0BBFBF32
	s_waitcnt lgkmcnt(0)                                       // 000000012618: BF8CC07F
	s_barrier                                                  // 00000001261C: BF8A0000
	ds_read_b32 v64, v7 offset:16896                           // 000000012620: D86C4200 40000007
	ds_read_b32 v65, v7 offset:16960                           // 000000012628: D86C4240 41000007
	ds_read_b32 v66, v7 offset:17024                           // 000000012630: D86C4280 42000007
	ds_read_b32 v67, v7 offset:17088                           // 000000012638: D86C42C0 43000007
	ds_read_b32 v68, v7 offset:17152                           // 000000012640: D86C4300 44000007
	ds_read_b32 v69, v7 offset:17216                           // 000000012648: D86C4340 45000007
	ds_read_b32 v70, v7 offset:17280                           // 000000012650: D86C4380 46000007
	ds_read_b32 v71, v7 offset:17344                           // 000000012658: D86C43C0 47000007
	ds_read_b32 v72, v7 offset:17408                           // 000000012660: D86C4400 48000007
	ds_read_b32 v73, v7 offset:17472                           // 000000012668: D86C4440 49000007
	ds_read_b32 v74, v7 offset:17536                           // 000000012670: D86C4480 4A000007
	ds_read_b32 v75, v7 offset:17600                           // 000000012678: D86C44C0 4B000007
	ds_read_b32 v76, v7 offset:17664                           // 000000012680: D86C4500 4C000007
	ds_read_b32 v77, v7 offset:17728                           // 000000012688: D86C4540 4D000007
	ds_read_b32 v78, v7 offset:17792                           // 000000012690: D86C4580 4E000007
	ds_read_b32 v79, v7 offset:17856                           // 000000012698: D86C45C0 4F000007
	v_mul_f32_e32 v184, v45, v184                              // 0000000126A0: 0B71712D
	v_mul_f32_e32 v185, v45, v185                              // 0000000126A4: 0B73732D
	v_mul_f32_e32 v186, v45, v186                              // 0000000126A8: 0B75752D
	v_mul_f32_e32 v187, v45, v187                              // 0000000126AC: 0B77772D
	v_mul_f32_e32 v188, v45, v188                              // 0000000126B0: 0B79792D
	v_mul_f32_e32 v189, v45, v189                              // 0000000126B4: 0B7B7B2D
	v_mul_f32_e32 v190, v45, v190                              // 0000000126B8: 0B7D7D2D
	v_mul_f32_e32 v191, v45, v191                              // 0000000126BC: 0B7F7F2D
	s_waitcnt lgkmcnt(0)                                       // 0000000126C0: BF8CC07F
	v_max3_f32 v48, v64, v65, v48                              // 0000000126C4: D1D30030 04C28340
	v_max3_f32 v48, v66, v67, v48                              // 0000000126CC: D1D30030 04C28742
	v_max3_f32 v48, v68, v69, v48                              // 0000000126D4: D1D30030 04C28B44
	v_max3_f32 v48, v70, v71, v48                              // 0000000126DC: D1D30030 04C28F46
	v_max3_f32 v48, v72, v73, v48                              // 0000000126E4: D1D30030 04C29348
	v_max3_f32 v48, v74, v75, v48                              // 0000000126EC: D1D30030 04C2974A
	v_max3_f32 v48, v76, v77, v48                              // 0000000126F4: D1D30030 04C29B4C
	v_max3_f32 v48, v78, v79, v48                              // 0000000126FC: D1D30030 04C29F4E
	v_mov_b32_e32 v64, 0xff800000                              // 000000012704: 7E8002FF FF800000
	v_cmp_eq_u32_e64 s[40:41], v64, v12                        // 00000001270C: D0CA0028 00021940
	s_nop 1                                                    // 000000012714: BF800001
	v_max_f32_e32 v15, v48, v12                                // 000000012718: 161E1930
	v_mul_f32_e32 v53, s64, v15                                // 00000001271C: 0A6A1E40
	v_fma_f32 v128, v128, s64, -v53                            // 000000012720: D1CB0080 84D48180
	v_fma_f32 v129, v129, s64, -v53                            // 000000012728: D1CB0081 84D48181
	v_fma_f32 v130, v130, s64, -v53                            // 000000012730: D1CB0082 84D48182
	v_fma_f32 v131, v131, s64, -v53                            // 000000012738: D1CB0083 84D48183
	v_fma_f32 v132, v132, s64, -v53                            // 000000012740: D1CB0084 84D48184
	v_fma_f32 v133, v133, s64, -v53                            // 000000012748: D1CB0085 84D48185
	v_fma_f32 v134, v134, s64, -v53                            // 000000012750: D1CB0086 84D48186
	v_fma_f32 v135, v135, s64, -v53                            // 000000012758: D1CB0087 84D48187
	v_fma_f32 v136, v136, s64, -v53                            // 000000012760: D1CB0088 84D48188
	v_fma_f32 v137, v137, s64, -v53                            // 000000012768: D1CB0089 84D48189
	v_fma_f32 v138, v138, s64, -v53                            // 000000012770: D1CB008A 84D4818A
	v_fma_f32 v139, v139, s64, -v53                            // 000000012778: D1CB008B 84D4818B
	v_fma_f32 v140, v140, s64, -v53                            // 000000012780: D1CB008C 84D4818C
	v_fma_f32 v141, v141, s64, -v53                            // 000000012788: D1CB008D 84D4818D
	v_fma_f32 v142, v142, s64, -v53                            // 000000012790: D1CB008E 84D4818E
	v_fma_f32 v143, v143, s64, -v53                            // 000000012798: D1CB008F 84D4818F
	v_exp_f32_e32 v128, v128                                   // 0000000127A0: 7F004180
	v_exp_f32_e32 v129, v129                                   // 0000000127A4: 7F024181
	v_exp_f32_e32 v130, v130                                   // 0000000127A8: 7F044182
	v_exp_f32_e32 v131, v131                                   // 0000000127AC: 7F064183
	v_exp_f32_e32 v132, v132                                   // 0000000127B0: 7F084184
	v_exp_f32_e32 v133, v133                                   // 0000000127B4: 7F0A4185
	v_exp_f32_e32 v134, v134                                   // 0000000127B8: 7F0C4186
	v_exp_f32_e32 v135, v135                                   // 0000000127BC: 7F0E4187
	v_exp_f32_e32 v136, v136                                   // 0000000127C0: 7F104188
	v_exp_f32_e32 v137, v137                                   // 0000000127C4: 7F124189
	v_exp_f32_e32 v138, v138                                   // 0000000127C8: 7F14418A
	v_exp_f32_e32 v139, v139                                   // 0000000127CC: 7F16418B
	v_exp_f32_e32 v140, v140                                   // 0000000127D0: 7F18418C
	v_exp_f32_e32 v141, v141                                   // 0000000127D4: 7F1A418D
	v_exp_f32_e32 v142, v142                                   // 0000000127D8: 7F1C418E
	v_exp_f32_e32 v143, v143                                   // 0000000127DC: 7F1E418F
	v_mul_f32_dpp v240, v252, v128 quad_perm:[0,0,0,0] row_mask:0xf bank_mask:0xf// 0000000127E0: 0BE100FA FF0000FC
	v_mul_f32_dpp v241, v252, v129 quad_perm:[1,1,1,1] row_mask:0xf bank_mask:0xf// 0000000127E8: 0BE302FA FF0055FC
	v_mul_f32_dpp v242, v252, v130 quad_perm:[2,2,2,2] row_mask:0xf bank_mask:0xf// 0000000127F0: 0BE504FA FF00AAFC
	v_mul_f32_dpp v243, v252, v131 quad_perm:[3,3,3,3] row_mask:0xf bank_mask:0xf// 0000000127F8: 0BE706FA FF00FFFC
	v_mul_f32_dpp v244, v253, v132 quad_perm:[0,0,0,0] row_mask:0xf bank_mask:0xf// 000000012800: 0BE908FA FF0000FD
	v_mul_f32_dpp v245, v253, v133 quad_perm:[1,1,1,1] row_mask:0xf bank_mask:0xf// 000000012808: 0BEB0AFA FF0055FD
	v_mul_f32_dpp v246, v253, v134 quad_perm:[2,2,2,2] row_mask:0xf bank_mask:0xf// 000000012810: 0BED0CFA FF00AAFD
	v_mul_f32_dpp v247, v253, v135 quad_perm:[3,3,3,3] row_mask:0xf bank_mask:0xf// 000000012818: 0BEF0EFA FF00FFFD
	v_mul_f32_dpp v248, v254, v136 quad_perm:[0,0,0,0] row_mask:0xf bank_mask:0xf// 000000012820: 0BF110FA FF0000FE
	v_mul_f32_dpp v249, v254, v137 quad_perm:[1,1,1,1] row_mask:0xf bank_mask:0xf// 000000012828: 0BF312FA FF0055FE
	v_mul_f32_dpp v250, v254, v138 quad_perm:[2,2,2,2] row_mask:0xf bank_mask:0xf// 000000012830: 0BF514FA FF00AAFE
	v_mul_f32_dpp v251, v254, v139 quad_perm:[3,3,3,3] row_mask:0xf bank_mask:0xf// 000000012838: 0BF716FA FF00FFFE
	v_mul_f32_dpp v252, v255, v140 quad_perm:[0,0,0,0] row_mask:0xf bank_mask:0xf// 000000012840: 0BF918FA FF0000FF
	v_mul_f32_dpp v253, v255, v141 quad_perm:[1,1,1,1] row_mask:0xf bank_mask:0xf// 000000012848: 0BFB1AFA FF0055FF
	v_mul_f32_dpp v254, v255, v142 quad_perm:[2,2,2,2] row_mask:0xf bank_mask:0xf// 000000012850: 0BFD1CFA FF00AAFF
	v_mul_f32_dpp v255, v255, v143 quad_perm:[3,3,3,3] row_mask:0xf bank_mask:0xf// 000000012858: 0BFF1EFA FF00FFFF
	v_mov_b32_e32 v48, 0x358637bd                              // 000000012860: 7E6002FF 358637BD
	v_max3_f32 v48, |v240|, |v241|, v48                        // 000000012868: D1D30330 04C3E3F0
	v_max3_f32 v48, |v242|, |v243|, v48                        // 000000012870: D1D30330 04C3E7F2
	v_max3_f32 v48, |v244|, |v245|, v48                        // 000000012878: D1D30330 04C3EBF4
	v_max3_f32 v48, |v246|, |v247|, v48                        // 000000012880: D1D30330 04C3EFF6
	v_max3_f32 v48, |v248|, |v249|, v48                        // 000000012888: D1D30330 04C3F3F8
	v_max3_f32 v48, |v250|, |v251|, v48                        // 000000012890: D1D30330 04C3F7FA
	v_max3_f32 v48, |v252|, |v253|, v48                        // 000000012898: D1D30330 04C3FBFC
	v_max3_f32 v48, |v254|, |v255|, v48                        // 0000000128A0: D1D30330 04C3FFFE
	ds_write_b32 v8, v48 offset:20992                          // 0000000128A8: D81A5200 00003008
	v_sub_f32_e32 v50, v12, v15                                // 0000000128B0: 04641F0C
	v_cndmask_b32_e64 v50, v50, 0, s[40:41]                    // 0000000128B4: D1000032 00A10132
	v_mov_b32_e32 v12, v15                                     // 0000000128BC: 7E18030F
	v_mul_f32_e32 v50, s64, v50                                // 0000000128C0: 0A646440
	v_exp_f32_e32 v50, v50                                     // 0000000128C4: 7E644132
	s_waitcnt lgkmcnt(0)                                       // 0000000128C8: BF8CC07F
	s_barrier                                                  // 0000000128CC: BF8A0000
	ds_read_b32 v64, v7 offset:20992                           // 0000000128D0: D86C5200 40000007
	ds_read_b32 v65, v7 offset:21056                           // 0000000128D8: D86C5240 41000007
	ds_read_b32 v66, v7 offset:21120                           // 0000000128E0: D86C5280 42000007
	ds_read_b32 v67, v7 offset:21184                           // 0000000128E8: D86C52C0 43000007
	ds_read_b32 v68, v7 offset:21248                           // 0000000128F0: D86C5300 44000007
	ds_read_b32 v69, v7 offset:21312                           // 0000000128F8: D86C5340 45000007
	ds_read_b32 v70, v7 offset:21376                           // 000000012900: D86C5380 46000007
	ds_read_b32 v71, v7 offset:21440                           // 000000012908: D86C53C0 47000007
	ds_read_b32 v72, v7 offset:21504                           // 000000012910: D86C5400 48000007
	ds_read_b32 v73, v7 offset:21568                           // 000000012918: D86C5440 49000007
	ds_read_b32 v74, v7 offset:21632                           // 000000012920: D86C5480 4A000007
	ds_read_b32 v75, v7 offset:21696                           // 000000012928: D86C54C0 4B000007
	ds_read_b32 v76, v7 offset:21760                           // 000000012930: D86C5500 4C000007
	ds_read_b32 v77, v7 offset:21824                           // 000000012938: D86C5540 4D000007
	ds_read_b32 v78, v7 offset:21888                           // 000000012940: D86C5580 4E000007
	ds_read_b32 v79, v7 offset:21952                           // 000000012948: D86C55C0 4F000007
	v_mul_f32_e32 v39, v50, v39                                // 000000012950: 0A4E4F32
	v_mov_b32_e32 v15, v128                                    // 000000012954: 7E1E0380
	v_add_f32_e32 v15, v129, v15                               // 000000012958: 021E1F81
	v_add_f32_e32 v15, v130, v15                               // 00000001295C: 021E1F82
	v_add_f32_e32 v15, v131, v15                               // 000000012960: 021E1F83
	v_add_f32_e32 v15, v132, v15                               // 000000012964: 021E1F84
	v_add_f32_e32 v15, v133, v15                               // 000000012968: 021E1F85
	v_add_f32_e32 v15, v134, v15                               // 00000001296C: 021E1F86
	v_add_f32_e32 v15, v135, v15                               // 000000012970: 021E1F87
	v_add_f32_e32 v15, v136, v15                               // 000000012974: 021E1F88
	v_add_f32_e32 v15, v137, v15                               // 000000012978: 021E1F89
	v_add_f32_e32 v15, v138, v15                               // 00000001297C: 021E1F8A
	v_add_f32_e32 v15, v139, v15                               // 000000012980: 021E1F8B
	v_add_f32_e32 v15, v140, v15                               // 000000012984: 021E1F8C
	v_add_f32_e32 v15, v141, v15                               // 000000012988: 021E1F8D
	v_add_f32_e32 v15, v142, v15                               // 00000001298C: 021E1F8E
	v_add_f32_e32 v15, v143, v15                               // 000000012990: 021E1F8F
	v_add_f32_e32 v39, v15, v39                                // 000000012994: 024E4F0F
	s_waitcnt lgkmcnt(0)                                       // 000000012998: BF8CC07F
	v_max3_f32 v48, |v64|, |v65|, v48                          // 00000001299C: D1D30330 04C28340
	v_max3_f32 v48, |v66|, |v67|, v48                          // 0000000129A4: D1D30330 04C28742
	v_max3_f32 v48, |v68|, |v69|, v48                          // 0000000129AC: D1D30330 04C28B44
	v_max3_f32 v48, |v70|, |v71|, v48                          // 0000000129B4: D1D30330 04C28F46
	v_max3_f32 v48, |v72|, |v73|, v48                          // 0000000129BC: D1D30330 04C29348
	v_max3_f32 v48, |v74|, |v75|, v48                          // 0000000129C4: D1D30330 04C2974A
	v_max3_f32 v48, |v76|, |v77|, v48                          // 0000000129CC: D1D30330 04C29B4C
	v_max3_f32 v48, |v78|, |v79|, v48                          // 0000000129D4: D1D30330 04C29F4E
	s_nop 2                                                    // 0000000129DC: BF800002
	v_rcp_f32_e32 v48, v48                                     // 0000000129E0: 7E604530
	s_nop 1                                                    // 0000000129E4: BF800001
	v_mul_f32_e32 v48, 0x43e00000, v48                         // 0000000129E8: 0A6060FF 43E00000
	v_mul_f32_e32 v128, v48, v240                              // 0000000129F0: 0B01E130
	v_mul_f32_e32 v129, v48, v241                              // 0000000129F4: 0B03E330
	v_mul_f32_e32 v130, v48, v242                              // 0000000129F8: 0B05E530
	v_mul_f32_e32 v131, v48, v243                              // 0000000129FC: 0B07E730
	v_mul_f32_e32 v132, v48, v244                              // 000000012A00: 0B09E930
	v_mul_f32_e32 v133, v48, v245                              // 000000012A04: 0B0BEB30
	v_mul_f32_e32 v134, v48, v246                              // 000000012A08: 0B0DED30
	v_mul_f32_e32 v135, v48, v247                              // 000000012A0C: 0B0FEF30
	v_mul_f32_e32 v136, v48, v248                              // 000000012A10: 0B11F130
	v_mul_f32_e32 v137, v48, v249                              // 000000012A14: 0B13F330
	v_mul_f32_e32 v138, v48, v250                              // 000000012A18: 0B15F530
	v_mul_f32_e32 v139, v48, v251                              // 000000012A1C: 0B17F730
	v_mul_f32_e32 v140, v48, v252                              // 000000012A20: 0B19F930
	v_mul_f32_e32 v141, v48, v253                              // 000000012A24: 0B1BFB30
	v_mul_f32_e32 v142, v48, v254                              // 000000012A28: 0B1DFD30
	v_mul_f32_e32 v143, v48, v255                              // 000000012A2C: 0B1FFF30
	v_cvt_pk_fp8_f32 v128, v128, v129                          // 000000012A30: D2A20080 00030380
	v_cvt_pk_fp8_f32 v128, v130, v131 op_sel:[0,0,1]           // 000000012A38: D2A24080 00030782
	v_cvt_pk_fp8_f32 v129, v132, v133                          // 000000012A40: D2A20081 00030B84
	v_cvt_pk_fp8_f32 v129, v134, v135 op_sel:[0,0,1]           // 000000012A48: D2A24081 00030F86
	v_cvt_pk_fp8_f32 v130, v136, v137                          // 000000012A50: D2A20082 00031388
	v_cvt_pk_fp8_f32 v130, v138, v139 op_sel:[0,0,1]           // 000000012A58: D2A24082 0003178A
	v_cvt_pk_fp8_f32 v131, v140, v141                          // 000000012A60: D2A20083 00031B8C
	v_cvt_pk_fp8_f32 v131, v142, v143 op_sel:[0,0,1]           // 000000012A68: D2A24083 00031F8E
	ds_write_b32 v10, v128 offset:29184                        // 000000012A70: D81A7200 0000800A
	ds_write_b32 v10, v129 offset:30208                        // 000000012A78: D81A7600 0000810A
	ds_write_b32 v10, v130 offset:31232                        // 000000012A80: D81A7A00 0000820A
	ds_write_b32 v10, v131 offset:32256                        // 000000012A88: D81A7E00 0000830A
	v_add_f32_e32 v216, v216, v184                             // 000000012A90: 03B171D8
	v_add_f32_e32 v217, v217, v185                             // 000000012A94: 03B373D9
	v_add_f32_e32 v218, v218, v186                             // 000000012A98: 03B575DA
	v_add_f32_e32 v219, v219, v187                             // 000000012A9C: 03B777DB
	v_add_f32_e32 v220, v220, v188                             // 000000012AA0: 03B979DC
	v_add_f32_e32 v221, v221, v189                             // 000000012AA4: 03BB7BDD
	v_add_f32_e32 v222, v222, v190                             // 000000012AA8: 03BD7DDE
	v_add_f32_e32 v223, v223, v191                             // 000000012AAC: 03BF7FDF
	v_rcp_f32_e32 v45, v48                                     // 000000012AB0: 7E5A4530
	s_waitcnt lgkmcnt(0)                                       // 000000012AB4: BF8CC07F
	s_barrier                                                  // 000000012AB8: BF8A0000
	ds_read_b64 v[128:129], v9 offset:29184                    // 000000012ABC: D8EC7200 80000009
	ds_read_b64 v[130:131], v9 offset:29312                    // 000000012AC4: D8EC7280 82000009
	ds_read_b64 v[132:133], v9 offset:30208                    // 000000012ACC: D8EC7600 84000009
	ds_read_b64 v[134:135], v9 offset:30336                    // 000000012AD4: D8EC7680 86000009
	ds_read_b64 v[136:137], v9 offset:31232                    // 000000012ADC: D8EC7A00 88000009
	ds_read_b64 v[138:139], v9 offset:31360                    // 000000012AE4: D8EC7A80 8A000009
	ds_read_b64 v[140:141], v9 offset:32256                    // 000000012AEC: D8EC7E00 8C000009
	ds_read_b64 v[142:143], v9 offset:32384                    // 000000012AF4: D8EC7E80 8E000009
	v_mov_b32_dpp v64, v42 row_shr:4 row_mask:0xf bank_mask:0xf// 000000012AFC: 7E8002FA FF01142A
	v_mov_b32_dpp v65, v42 row_shl:4 row_mask:0xf bank_mask:0xf// 000000012B04: 7E8202FA FF01042A
	v_cndmask_b32_e64 v248, v42, v64, s[44:45]                 // 000000012B0C: D10000F8 00B2812A
	v_cndmask_b32_e64 v249, v65, v42, s[44:45]                 // 000000012B14: D10000F9 00B25541
	v_mov_b32_dpp v64, v248 row_shr:8 row_mask:0xf bank_mask:0xf// 000000012B1C: 7E8002FA FF0118F8
	v_mov_b32_dpp v65, v248 row_shl:8 row_mask:0xf bank_mask:0xf// 000000012B24: 7E8202FA FF0108F8
	v_mov_b32_dpp v66, v249 row_shr:8 row_mask:0xf bank_mask:0xf// 000000012B2C: 7E8402FA FF0118F9
	v_mov_b32_dpp v67, v249 row_shl:8 row_mask:0xf bank_mask:0xf// 000000012B34: 7E8602FA FF0108F9
	v_mov_b32_e32 v68, v248                                    // 000000012B3C: 7E8803F8
	v_mov_b32_e32 v69, v249                                    // 000000012B40: 7E8A03F9
	v_cndmask_b32_e64 v248, v68, v64, s[42:43]                 // 000000012B44: D10000F8 00AA8144
	v_cndmask_b32_e64 v250, v68, v65, s[78:79]                 // 000000012B4C: D10000FA 013A8344
	v_cndmask_b32_e64 v249, v69, v66, s[42:43]                 // 000000012B54: D10000F9 00AA8545
	v_cndmask_b32_e64 v251, v69, v67, s[78:79]                 // 000000012B5C: D10000FB 013A8745
	v_mov_b32_dpp v64, v57 row_shr:4 row_mask:0xf bank_mask:0xf// 000000012B64: 7E8002FA FF011439
	v_mov_b32_dpp v65, v57 row_shl:4 row_mask:0xf bank_mask:0xf// 000000012B6C: 7E8202FA FF010439
	v_cndmask_b32_e64 v252, v57, v64, s[44:45]                 // 000000012B74: D10000FC 00B28139
	v_cndmask_b32_e64 v253, v65, v57, s[44:45]                 // 000000012B7C: D10000FD 00B27341
	v_mov_b32_dpp v64, v252 row_shr:8 row_mask:0xf bank_mask:0xf// 000000012B84: 7E8002FA FF0118FC
	v_mov_b32_dpp v65, v252 row_shl:8 row_mask:0xf bank_mask:0xf// 000000012B8C: 7E8202FA FF0108FC
	v_mov_b32_dpp v66, v253 row_shr:8 row_mask:0xf bank_mask:0xf// 000000012B94: 7E8402FA FF0118FD
	v_mov_b32_dpp v67, v253 row_shl:8 row_mask:0xf bank_mask:0xf// 000000012B9C: 7E8602FA FF0108FD
	v_mov_b32_e32 v68, v252                                    // 000000012BA4: 7E8803FC
	v_mov_b32_e32 v69, v253                                    // 000000012BA8: 7E8A03FD
	v_cndmask_b32_e64 v252, v68, v64, s[42:43]                 // 000000012BAC: D10000FC 00AA8144
	v_cndmask_b32_e64 v254, v68, v65, s[78:79]                 // 000000012BB4: D10000FE 013A8344
	v_cndmask_b32_e64 v253, v69, v66, s[42:43]                 // 000000012BBC: D10000FD 00AA8545
	v_cndmask_b32_e64 v255, v69, v67, s[78:79]                 // 000000012BC4: D10000FF 013A8745
	v_mul_f32_e32 v144, v20, v144                              // 000000012BCC: 0B212114
	v_mul_f32_e32 v145, v20, v145                              // 000000012BD0: 0B232314
	v_mul_f32_e32 v146, v20, v146                              // 000000012BD4: 0B252514
	v_mul_f32_e32 v147, v20, v147                              // 000000012BD8: 0B272714
	v_mul_f32_e32 v148, v20, v148                              // 000000012BDC: 0B292914
	v_mul_f32_e32 v149, v20, v149                              // 000000012BE0: 0B2B2B14
	v_mul_f32_e32 v150, v20, v150                              // 000000012BE4: 0B2D2D14
	v_mul_f32_e32 v151, v20, v151                              // 000000012BE8: 0B2F2F14
	v_mul_f32_e32 v152, v20, v152                              // 000000012BEC: 0B313114
	v_mul_f32_e32 v153, v20, v153                              // 000000012BF0: 0B333314
	v_mul_f32_e32 v154, v20, v154                              // 000000012BF4: 0B353514
	v_mul_f32_e32 v155, v20, v155                              // 000000012BF8: 0B373714
	v_mul_f32_e32 v156, v20, v156                              // 000000012BFC: 0B393914
	v_mul_f32_e32 v157, v20, v157                              // 000000012C00: 0B3B3B14
	v_mul_f32_e32 v158, v20, v158                              // 000000012C04: 0B3D3D14
	v_mul_f32_e32 v159, v20, v159                              // 000000012C08: 0B3F3F14
	v_mul_f32_dpp v144, v248, v144 quad_perm:[0,0,0,0] row_mask:0xf bank_mask:0xf// 000000012C0C: 0B2120FA FF0000F8
	v_mul_f32_dpp v145, v248, v145 quad_perm:[1,1,1,1] row_mask:0xf bank_mask:0xf// 000000012C14: 0B2322FA FF0055F8
	v_mul_f32_dpp v146, v248, v146 quad_perm:[2,2,2,2] row_mask:0xf bank_mask:0xf// 000000012C1C: 0B2524FA FF00AAF8
	v_mul_f32_dpp v147, v248, v147 quad_perm:[3,3,3,3] row_mask:0xf bank_mask:0xf// 000000012C24: 0B2726FA FF00FFF8
	v_mul_f32_dpp v148, v249, v148 quad_perm:[0,0,0,0] row_mask:0xf bank_mask:0xf// 000000012C2C: 0B2928FA FF0000F9
	v_mul_f32_dpp v149, v249, v149 quad_perm:[1,1,1,1] row_mask:0xf bank_mask:0xf// 000000012C34: 0B2B2AFA FF0055F9
	v_mul_f32_dpp v150, v249, v150 quad_perm:[2,2,2,2] row_mask:0xf bank_mask:0xf// 000000012C3C: 0B2D2CFA FF00AAF9
	v_mul_f32_dpp v151, v249, v151 quad_perm:[3,3,3,3] row_mask:0xf bank_mask:0xf// 000000012C44: 0B2F2EFA FF00FFF9
	v_mul_f32_dpp v152, v250, v152 quad_perm:[0,0,0,0] row_mask:0xf bank_mask:0xf// 000000012C4C: 0B3130FA FF0000FA
	v_mul_f32_dpp v153, v250, v153 quad_perm:[1,1,1,1] row_mask:0xf bank_mask:0xf// 000000012C54: 0B3332FA FF0055FA
	v_mul_f32_dpp v154, v250, v154 quad_perm:[2,2,2,2] row_mask:0xf bank_mask:0xf// 000000012C5C: 0B3534FA FF00AAFA
	v_mul_f32_dpp v155, v250, v155 quad_perm:[3,3,3,3] row_mask:0xf bank_mask:0xf// 000000012C64: 0B3736FA FF00FFFA
	v_mul_f32_dpp v156, v251, v156 quad_perm:[0,0,0,0] row_mask:0xf bank_mask:0xf// 000000012C6C: 0B3938FA FF0000FB
	v_mul_f32_dpp v157, v251, v157 quad_perm:[1,1,1,1] row_mask:0xf bank_mask:0xf// 000000012C74: 0B3B3AFA FF0055FB
	v_mul_f32_dpp v158, v251, v158 quad_perm:[2,2,2,2] row_mask:0xf bank_mask:0xf// 000000012C7C: 0B3D3CFA FF00AAFB
	v_mul_f32_dpp v159, v251, v159 quad_perm:[3,3,3,3] row_mask:0xf bank_mask:0xf// 000000012C84: 0B3F3EFA FF00FFFB
	v_mov_b32_e32 v48, v144                                    // 000000012C8C: 7E600390
	v_max3_f32 v48, v144, v145, v48                            // 000000012C90: D1D30030 04C32390
	v_max3_f32 v48, v146, v147, v48                            // 000000012C98: D1D30030 04C32792
	v_max3_f32 v48, v148, v149, v48                            // 000000012CA0: D1D30030 04C32B94
	v_max3_f32 v48, v150, v151, v48                            // 000000012CA8: D1D30030 04C32F96
	v_max3_f32 v48, v152, v153, v48                            // 000000012CB0: D1D30030 04C33398
	v_max3_f32 v48, v154, v155, v48                            // 000000012CB8: D1D30030 04C3379A
	v_max3_f32 v48, v156, v157, v48                            // 000000012CC0: D1D30030 04C33B9C
	v_max3_f32 v48, v158, v159, v48                            // 000000012CC8: D1D30030 04C33F9E
	ds_write_b32 v8, v48 offset:16896                          // 000000012CD0: D81A4200 00003008
	v_mul_f32_e32 v224, v51, v224                              // 000000012CD8: 0BC1C133
	v_mul_f32_e32 v225, v51, v225                              // 000000012CDC: 0BC3C333
	v_mul_f32_e32 v226, v51, v226                              // 000000012CE0: 0BC5C533
	v_mul_f32_e32 v227, v51, v227                              // 000000012CE4: 0BC7C733
	v_mul_f32_e32 v228, v51, v228                              // 000000012CE8: 0BC9C933
	v_mul_f32_e32 v229, v51, v229                              // 000000012CEC: 0BCBCB33
	v_mul_f32_e32 v230, v51, v230                              // 000000012CF0: 0BCDCD33
	v_mul_f32_e32 v231, v51, v231                              // 000000012CF4: 0BCFCF33
	s_waitcnt lgkmcnt(0)                                       // 000000012CF8: BF8CC07F
	s_barrier                                                  // 000000012CFC: BF8A0000
	ds_read_b32 v64, v7 offset:16896                           // 000000012D00: D86C4200 40000007
	ds_read_b32 v65, v7 offset:16960                           // 000000012D08: D86C4240 41000007
	ds_read_b32 v66, v7 offset:17024                           // 000000012D10: D86C4280 42000007
	ds_read_b32 v67, v7 offset:17088                           // 000000012D18: D86C42C0 43000007
	ds_read_b32 v68, v7 offset:17152                           // 000000012D20: D86C4300 44000007
	ds_read_b32 v69, v7 offset:17216                           // 000000012D28: D86C4340 45000007
	ds_read_b32 v70, v7 offset:17280                           // 000000012D30: D86C4380 46000007
	ds_read_b32 v71, v7 offset:17344                           // 000000012D38: D86C43C0 47000007
	ds_read_b32 v72, v7 offset:17408                           // 000000012D40: D86C4400 48000007
	ds_read_b32 v73, v7 offset:17472                           // 000000012D48: D86C4440 49000007
	ds_read_b32 v74, v7 offset:17536                           // 000000012D50: D86C4480 4A000007
	ds_read_b32 v75, v7 offset:17600                           // 000000012D58: D86C44C0 4B000007
	ds_read_b32 v76, v7 offset:17664                           // 000000012D60: D86C4500 4C000007
	ds_read_b32 v77, v7 offset:17728                           // 000000012D68: D86C4540 4D000007
	ds_read_b32 v78, v7 offset:17792                           // 000000012D70: D86C4580 4E000007
	ds_read_b32 v79, v7 offset:17856                           // 000000012D78: D86C45C0 4F000007
	v_mul_f32_e32 v192, v46, v192                              // 000000012D80: 0B81812E
	v_mul_f32_e32 v193, v46, v193                              // 000000012D84: 0B83832E
	v_mul_f32_e32 v194, v46, v194                              // 000000012D88: 0B85852E
	v_mul_f32_e32 v195, v46, v195                              // 000000012D8C: 0B87872E
	v_mul_f32_e32 v196, v46, v196                              // 000000012D90: 0B89892E
	v_mul_f32_e32 v197, v46, v197                              // 000000012D94: 0B8B8B2E
	v_mul_f32_e32 v198, v46, v198                              // 000000012D98: 0B8D8D2E
	v_mul_f32_e32 v199, v46, v199                              // 000000012D9C: 0B8F8F2E
	s_waitcnt lgkmcnt(0)                                       // 000000012DA0: BF8CC07F
	v_max3_f32 v48, v64, v65, v48                              // 000000012DA4: D1D30030 04C28340
	v_max3_f32 v48, v66, v67, v48                              // 000000012DAC: D1D30030 04C28742
	v_max3_f32 v48, v68, v69, v48                              // 000000012DB4: D1D30030 04C28B44
	v_max3_f32 v48, v70, v71, v48                              // 000000012DBC: D1D30030 04C28F46
	v_max3_f32 v48, v72, v73, v48                              // 000000012DC4: D1D30030 04C29348
	v_max3_f32 v48, v74, v75, v48                              // 000000012DCC: D1D30030 04C2974A
	v_max3_f32 v48, v76, v77, v48                              // 000000012DD4: D1D30030 04C29B4C
	v_max3_f32 v48, v78, v79, v48                              // 000000012DDC: D1D30030 04C29F4E
	v_mov_b32_e32 v64, 0xff800000                              // 000000012DE4: 7E8002FF FF800000
	v_cmp_eq_u32_e64 s[40:41], v64, v13                        // 000000012DEC: D0CA0028 00021B40
	s_nop 1                                                    // 000000012DF4: BF800001
	v_max_f32_e32 v15, v48, v13                                // 000000012DF8: 161E1B30
	v_mul_f32_e32 v53, s64, v15                                // 000000012DFC: 0A6A1E40
	v_fma_f32 v144, v144, s64, -v53                            // 000000012E00: D1CB0090 84D48190
	v_fma_f32 v145, v145, s64, -v53                            // 000000012E08: D1CB0091 84D48191
	v_fma_f32 v146, v146, s64, -v53                            // 000000012E10: D1CB0092 84D48192
	v_fma_f32 v147, v147, s64, -v53                            // 000000012E18: D1CB0093 84D48193
	v_fma_f32 v148, v148, s64, -v53                            // 000000012E20: D1CB0094 84D48194
	v_fma_f32 v149, v149, s64, -v53                            // 000000012E28: D1CB0095 84D48195
	v_fma_f32 v150, v150, s64, -v53                            // 000000012E30: D1CB0096 84D48196
	v_fma_f32 v151, v151, s64, -v53                            // 000000012E38: D1CB0097 84D48197
	v_fma_f32 v152, v152, s64, -v53                            // 000000012E40: D1CB0098 84D48198
	v_fma_f32 v153, v153, s64, -v53                            // 000000012E48: D1CB0099 84D48199
	v_fma_f32 v154, v154, s64, -v53                            // 000000012E50: D1CB009A 84D4819A
	v_fma_f32 v155, v155, s64, -v53                            // 000000012E58: D1CB009B 84D4819B
	v_fma_f32 v156, v156, s64, -v53                            // 000000012E60: D1CB009C 84D4819C
	v_fma_f32 v157, v157, s64, -v53                            // 000000012E68: D1CB009D 84D4819D
	v_fma_f32 v158, v158, s64, -v53                            // 000000012E70: D1CB009E 84D4819E
	v_fma_f32 v159, v159, s64, -v53                            // 000000012E78: D1CB009F 84D4819F
	v_exp_f32_e32 v144, v144                                   // 000000012E80: 7F204190
	v_exp_f32_e32 v145, v145                                   // 000000012E84: 7F224191
	v_exp_f32_e32 v146, v146                                   // 000000012E88: 7F244192
	v_exp_f32_e32 v147, v147                                   // 000000012E8C: 7F264193
	v_exp_f32_e32 v148, v148                                   // 000000012E90: 7F284194
	v_exp_f32_e32 v149, v149                                   // 000000012E94: 7F2A4195
	v_exp_f32_e32 v150, v150                                   // 000000012E98: 7F2C4196
	v_exp_f32_e32 v151, v151                                   // 000000012E9C: 7F2E4197
	v_exp_f32_e32 v152, v152                                   // 000000012EA0: 7F304198
	v_exp_f32_e32 v153, v153                                   // 000000012EA4: 7F324199
	v_exp_f32_e32 v154, v154                                   // 000000012EA8: 7F34419A
	v_exp_f32_e32 v155, v155                                   // 000000012EAC: 7F36419B
	v_exp_f32_e32 v156, v156                                   // 000000012EB0: 7F38419C
	v_exp_f32_e32 v157, v157                                   // 000000012EB4: 7F3A419D
	v_exp_f32_e32 v158, v158                                   // 000000012EB8: 7F3C419E
	v_exp_f32_e32 v159, v159                                   // 000000012EBC: 7F3E419F
	v_mul_f32_dpp v240, v252, v144 quad_perm:[0,0,0,0] row_mask:0xf bank_mask:0xf// 000000012EC0: 0BE120FA FF0000FC
	v_mul_f32_dpp v241, v252, v145 quad_perm:[1,1,1,1] row_mask:0xf bank_mask:0xf// 000000012EC8: 0BE322FA FF0055FC
	v_mul_f32_dpp v242, v252, v146 quad_perm:[2,2,2,2] row_mask:0xf bank_mask:0xf// 000000012ED0: 0BE524FA FF00AAFC
	v_mul_f32_dpp v243, v252, v147 quad_perm:[3,3,3,3] row_mask:0xf bank_mask:0xf// 000000012ED8: 0BE726FA FF00FFFC
	v_mul_f32_dpp v244, v253, v148 quad_perm:[0,0,0,0] row_mask:0xf bank_mask:0xf// 000000012EE0: 0BE928FA FF0000FD
	v_mul_f32_dpp v245, v253, v149 quad_perm:[1,1,1,1] row_mask:0xf bank_mask:0xf// 000000012EE8: 0BEB2AFA FF0055FD
	v_mul_f32_dpp v246, v253, v150 quad_perm:[2,2,2,2] row_mask:0xf bank_mask:0xf// 000000012EF0: 0BED2CFA FF00AAFD
	v_mul_f32_dpp v247, v253, v151 quad_perm:[3,3,3,3] row_mask:0xf bank_mask:0xf// 000000012EF8: 0BEF2EFA FF00FFFD
	v_mul_f32_dpp v248, v254, v152 quad_perm:[0,0,0,0] row_mask:0xf bank_mask:0xf// 000000012F00: 0BF130FA FF0000FE
	v_mul_f32_dpp v249, v254, v153 quad_perm:[1,1,1,1] row_mask:0xf bank_mask:0xf// 000000012F08: 0BF332FA FF0055FE
	v_mul_f32_dpp v250, v254, v154 quad_perm:[2,2,2,2] row_mask:0xf bank_mask:0xf// 000000012F10: 0BF534FA FF00AAFE
	v_mul_f32_dpp v251, v254, v155 quad_perm:[3,3,3,3] row_mask:0xf bank_mask:0xf// 000000012F18: 0BF736FA FF00FFFE
	v_mul_f32_dpp v252, v255, v156 quad_perm:[0,0,0,0] row_mask:0xf bank_mask:0xf// 000000012F20: 0BF938FA FF0000FF
	v_mul_f32_dpp v253, v255, v157 quad_perm:[1,1,1,1] row_mask:0xf bank_mask:0xf// 000000012F28: 0BFB3AFA FF0055FF
	v_mul_f32_dpp v254, v255, v158 quad_perm:[2,2,2,2] row_mask:0xf bank_mask:0xf// 000000012F30: 0BFD3CFA FF00AAFF
	v_mul_f32_dpp v255, v255, v159 quad_perm:[3,3,3,3] row_mask:0xf bank_mask:0xf// 000000012F38: 0BFF3EFA FF00FFFF
	v_mov_b32_e32 v48, 0x358637bd                              // 000000012F40: 7E6002FF 358637BD
	v_max3_f32 v48, |v240|, |v241|, v48                        // 000000012F48: D1D30330 04C3E3F0
	v_max3_f32 v48, |v242|, |v243|, v48                        // 000000012F50: D1D30330 04C3E7F2
	v_max3_f32 v48, |v244|, |v245|, v48                        // 000000012F58: D1D30330 04C3EBF4
	v_max3_f32 v48, |v246|, |v247|, v48                        // 000000012F60: D1D30330 04C3EFF6
	v_max3_f32 v48, |v248|, |v249|, v48                        // 000000012F68: D1D30330 04C3F3F8
	v_max3_f32 v48, |v250|, |v251|, v48                        // 000000012F70: D1D30330 04C3F7FA
	v_max3_f32 v48, |v252|, |v253|, v48                        // 000000012F78: D1D30330 04C3FBFC
	v_max3_f32 v48, |v254|, |v255|, v48                        // 000000012F80: D1D30330 04C3FFFE
	ds_write_b32 v8, v48 offset:20992                          // 000000012F88: D81A5200 00003008
	v_sub_f32_e32 v51, v13, v15                                // 000000012F90: 04661F0D
	v_cndmask_b32_e64 v51, v51, 0, s[40:41]                    // 000000012F94: D1000033 00A10133
	v_mov_b32_e32 v13, v15                                     // 000000012F9C: 7E1A030F
	v_mul_f32_e32 v51, s64, v51                                // 000000012FA0: 0A666640
	v_exp_f32_e32 v51, v51                                     // 000000012FA4: 7E664133
	s_waitcnt lgkmcnt(0)                                       // 000000012FA8: BF8CC07F
	s_barrier                                                  // 000000012FAC: BF8A0000
	ds_read_b32 v64, v7 offset:20992                           // 000000012FB0: D86C5200 40000007
	ds_read_b32 v65, v7 offset:21056                           // 000000012FB8: D86C5240 41000007
	ds_read_b32 v66, v7 offset:21120                           // 000000012FC0: D86C5280 42000007
	ds_read_b32 v67, v7 offset:21184                           // 000000012FC8: D86C52C0 43000007
	ds_read_b32 v68, v7 offset:21248                           // 000000012FD0: D86C5300 44000007
	ds_read_b32 v69, v7 offset:21312                           // 000000012FD8: D86C5340 45000007
	ds_read_b32 v70, v7 offset:21376                           // 000000012FE0: D86C5380 46000007
	ds_read_b32 v71, v7 offset:21440                           // 000000012FE8: D86C53C0 47000007
	ds_read_b32 v72, v7 offset:21504                           // 000000012FF0: D86C5400 48000007
	ds_read_b32 v73, v7 offset:21568                           // 000000012FF8: D86C5440 49000007
	ds_read_b32 v74, v7 offset:21632                           // 000000013000: D86C5480 4A000007
	ds_read_b32 v75, v7 offset:21696                           // 000000013008: D86C54C0 4B000007
	ds_read_b32 v76, v7 offset:21760                           // 000000013010: D86C5500 4C000007
	ds_read_b32 v77, v7 offset:21824                           // 000000013018: D86C5540 4D000007
	ds_read_b32 v78, v7 offset:21888                           // 000000013020: D86C5580 4E000007
	ds_read_b32 v79, v7 offset:21952                           // 000000013028: D86C55C0 4F000007
	v_mul_f32_e32 v40, v51, v40                                // 000000013030: 0A505133
	v_mov_b32_e32 v15, v144                                    // 000000013034: 7E1E0390
	v_add_f32_e32 v15, v145, v15                               // 000000013038: 021E1F91
	v_add_f32_e32 v15, v146, v15                               // 00000001303C: 021E1F92
	v_add_f32_e32 v15, v147, v15                               // 000000013040: 021E1F93
	v_add_f32_e32 v15, v148, v15                               // 000000013044: 021E1F94
	v_add_f32_e32 v15, v149, v15                               // 000000013048: 021E1F95
	v_add_f32_e32 v15, v150, v15                               // 00000001304C: 021E1F96
	v_add_f32_e32 v15, v151, v15                               // 000000013050: 021E1F97
	v_add_f32_e32 v15, v152, v15                               // 000000013054: 021E1F98
	v_add_f32_e32 v15, v153, v15                               // 000000013058: 021E1F99
	v_add_f32_e32 v15, v154, v15                               // 00000001305C: 021E1F9A
	v_add_f32_e32 v15, v155, v15                               // 000000013060: 021E1F9B
	v_add_f32_e32 v15, v156, v15                               // 000000013064: 021E1F9C
	v_add_f32_e32 v15, v157, v15                               // 000000013068: 021E1F9D
	v_add_f32_e32 v15, v158, v15                               // 00000001306C: 021E1F9E
	v_add_f32_e32 v15, v159, v15                               // 000000013070: 021E1F9F
	v_add_f32_e32 v40, v15, v40                                // 000000013074: 0250510F
	s_waitcnt lgkmcnt(0)                                       // 000000013078: BF8CC07F
	v_max3_f32 v48, |v64|, |v65|, v48                          // 00000001307C: D1D30330 04C28340
	v_max3_f32 v48, |v66|, |v67|, v48                          // 000000013084: D1D30330 04C28742
	v_max3_f32 v48, |v68|, |v69|, v48                          // 00000001308C: D1D30330 04C28B44
	v_max3_f32 v48, |v70|, |v71|, v48                          // 000000013094: D1D30330 04C28F46
	v_max3_f32 v48, |v72|, |v73|, v48                          // 00000001309C: D1D30330 04C29348
	v_max3_f32 v48, |v74|, |v75|, v48                          // 0000000130A4: D1D30330 04C2974A
	v_max3_f32 v48, |v76|, |v77|, v48                          // 0000000130AC: D1D30330 04C29B4C
	v_max3_f32 v48, |v78|, |v79|, v48                          // 0000000130B4: D1D30330 04C29F4E
	s_nop 2                                                    // 0000000130BC: BF800002
	v_rcp_f32_e32 v48, v48                                     // 0000000130C0: 7E604530
	s_nop 1                                                    // 0000000130C4: BF800001
	v_mul_f32_e32 v48, 0x43e00000, v48                         // 0000000130C8: 0A6060FF 43E00000
	v_mul_f32_e32 v144, v48, v240                              // 0000000130D0: 0B21E130
	v_mul_f32_e32 v145, v48, v241                              // 0000000130D4: 0B23E330
	v_mul_f32_e32 v146, v48, v242                              // 0000000130D8: 0B25E530
	v_mul_f32_e32 v147, v48, v243                              // 0000000130DC: 0B27E730
	v_mul_f32_e32 v148, v48, v244                              // 0000000130E0: 0B29E930
	v_mul_f32_e32 v149, v48, v245                              // 0000000130E4: 0B2BEB30
	v_mul_f32_e32 v150, v48, v246                              // 0000000130E8: 0B2DED30
	v_mul_f32_e32 v151, v48, v247                              // 0000000130EC: 0B2FEF30
	v_mul_f32_e32 v152, v48, v248                              // 0000000130F0: 0B31F130
	v_mul_f32_e32 v153, v48, v249                              // 0000000130F4: 0B33F330
	v_mul_f32_e32 v154, v48, v250                              // 0000000130F8: 0B35F530
	v_mul_f32_e32 v155, v48, v251                              // 0000000130FC: 0B37F730
	v_mul_f32_e32 v156, v48, v252                              // 000000013100: 0B39F930
	v_mul_f32_e32 v157, v48, v253                              // 000000013104: 0B3BFB30
	v_mul_f32_e32 v158, v48, v254                              // 000000013108: 0B3DFD30
	v_mul_f32_e32 v159, v48, v255                              // 00000001310C: 0B3FFF30
	v_cvt_pk_fp8_f32 v144, v144, v145                          // 000000013110: D2A20090 00032390
	v_cvt_pk_fp8_f32 v144, v146, v147 op_sel:[0,0,1]           // 000000013118: D2A24090 00032792
	v_cvt_pk_fp8_f32 v145, v148, v149                          // 000000013120: D2A20091 00032B94
	v_cvt_pk_fp8_f32 v145, v150, v151 op_sel:[0,0,1]           // 000000013128: D2A24091 00032F96
	v_cvt_pk_fp8_f32 v146, v152, v153                          // 000000013130: D2A20092 00033398
	v_cvt_pk_fp8_f32 v146, v154, v155 op_sel:[0,0,1]           // 000000013138: D2A24092 0003379A
	v_cvt_pk_fp8_f32 v147, v156, v157                          // 000000013140: D2A20093 00033B9C
	v_cvt_pk_fp8_f32 v147, v158, v159 op_sel:[0,0,1]           // 000000013148: D2A24093 00033F9E
	ds_write_b32 v10, v144 offset:33280                        // 000000013150: D81A8200 0000900A
	ds_write_b32 v10, v145 offset:34304                        // 000000013158: D81A8600 0000910A
	ds_write_b32 v10, v146 offset:35328                        // 000000013160: D81A8A00 0000920A
	ds_write_b32 v10, v147 offset:36352                        // 000000013168: D81A8E00 0000930A
	v_add_f32_e32 v224, v224, v192                             // 000000013170: 03C181E0
	v_add_f32_e32 v225, v225, v193                             // 000000013174: 03C383E1
	v_add_f32_e32 v226, v226, v194                             // 000000013178: 03C585E2
	v_add_f32_e32 v227, v227, v195                             // 00000001317C: 03C787E3
	v_add_f32_e32 v228, v228, v196                             // 000000013180: 03C989E4
	v_add_f32_e32 v229, v229, v197                             // 000000013184: 03CB8BE5
	v_add_f32_e32 v230, v230, v198                             // 000000013188: 03CD8DE6
	v_add_f32_e32 v231, v231, v199                             // 00000001318C: 03CF8FE7
	v_rcp_f32_e32 v46, v48                                     // 000000013190: 7E5C4530
	s_waitcnt lgkmcnt(0)                                       // 000000013194: BF8CC07F
	s_barrier                                                  // 000000013198: BF8A0000
	ds_read_b64 v[144:145], v9 offset:33280                    // 00000001319C: D8EC8200 90000009
	ds_read_b64 v[146:147], v9 offset:33408                    // 0000000131A4: D8EC8280 92000009
	ds_read_b64 v[148:149], v9 offset:34304                    // 0000000131AC: D8EC8600 94000009
	ds_read_b64 v[150:151], v9 offset:34432                    // 0000000131B4: D8EC8680 96000009
	ds_read_b64 v[152:153], v9 offset:35328                    // 0000000131BC: D8EC8A00 98000009
	ds_read_b64 v[154:155], v9 offset:35456                    // 0000000131C4: D8EC8A80 9A000009
	ds_read_b64 v[156:157], v9 offset:36352                    // 0000000131CC: D8EC8E00 9C000009
	ds_read_b64 v[158:159], v9 offset:36480                    // 0000000131D4: D8EC8E80 9E000009
	s_waitcnt vmcnt(15)                                        // 0000000131DC: BF8C0F7F
	v_mfma_f32_16x16x32_fp8_fp8 v[176:179], a[64:65], v[112:113], 0// 0000000131E0: D3F300B0 0A02E140
	buffer_load_dwordx4 a[112:115], v34, s[20:23], 0 offen offset:1024// 0000000131E8: E05C1400 80857022
	v_mfma_f32_16x16x32_fp8_fp8 v[176:179], a[66:67], v[114:115], v[176:179]// 0000000131F0: D3F300B0 0EC2E542
	v_mfma_f32_16x16x32_fp8_fp8 v[176:179], a[68:69], v[116:117], v[176:179]// 0000000131F8: D3F300B0 0EC2E944
	v_mfma_f32_16x16x32_fp8_fp8 v[176:179], a[70:71], v[118:119], v[176:179]// 000000013200: D3F300B0 0EC2ED46
	v_mfma_f32_16x16x32_fp8_fp8 v[176:179], a[72:73], v[120:121], v[176:179]// 000000013208: D3F300B0 0EC2F148
	buffer_load_dwordx4 a[116:119], v35, s[20:23], 0 offen offset:1024// 000000013210: E05C1400 80857423
	v_mfma_f32_16x16x32_fp8_fp8 v[176:179], a[74:75], v[122:123], v[176:179]// 000000013218: D3F300B0 0EC2F54A
	v_mfma_f32_16x16x32_fp8_fp8 v[176:179], a[76:77], v[124:125], v[176:179]// 000000013220: D3F300B0 0EC2F94C
	v_mfma_f32_16x16x32_fp8_fp8 v[176:179], a[78:79], v[126:127], v[176:179]// 000000013228: D3F300B0 0EC2FD4E
	v_mfma_f32_16x16x32_fp8_fp8 v[180:183], a[80:81], v[112:113], 0// 000000013230: D3F300B4 0A02E150
	buffer_load_dwordx4 a[120:123], v36, s[20:23], 0 offen offset:1024// 000000013238: E05C1400 80857824
	v_mfma_f32_16x16x32_fp8_fp8 v[180:183], a[82:83], v[114:115], v[180:183]// 000000013240: D3F300B4 0ED2E552
	v_mfma_f32_16x16x32_fp8_fp8 v[180:183], a[84:85], v[116:117], v[180:183]// 000000013248: D3F300B4 0ED2E954
	v_mfma_f32_16x16x32_fp8_fp8 v[180:183], a[86:87], v[118:119], v[180:183]// 000000013250: D3F300B4 0ED2ED56
	v_mfma_f32_16x16x32_fp8_fp8 v[180:183], a[88:89], v[120:121], v[180:183]// 000000013258: D3F300B4 0ED2F158
	buffer_load_dwordx4 a[124:127], v37, s[20:23], 0 offen offset:1024// 000000013260: E05C1400 80857C25
	v_mfma_f32_16x16x32_fp8_fp8 v[180:183], a[90:91], v[122:123], v[180:183]// 000000013268: D3F300B4 0ED2F55A
	v_mfma_f32_16x16x32_fp8_fp8 v[180:183], a[92:93], v[124:125], v[180:183]// 000000013270: D3F300B4 0ED2F95C
	s_lshr_b32 s57, s70, 4                                     // 000000013278: 8F398446
	s_add_u32 s57, 48, s57                                     // 00000001327C: 803939B0
	v_mfma_f32_16x16x32_fp8_fp8 v[180:183], a[94:95], v[126:127], v[180:183]// 000000013280: D3F300B4 0ED2FD5E
	s_cmp_ge_u32 s57, s73                                      // 000000013288: BF094939
	s_cselect_b32 s56, 0, s56                                  // 00000001328C: 85383880
	v_mfma_f32_16x16x32_fp8_fp8 v[184:187], a[64:65], v[128:129], 0// 000000013290: D3F300B8 0A030140
	v_mfma_f32_16x16x32_fp8_fp8 v[184:187], a[66:67], v[130:131], v[184:187]// 000000013298: D3F300B8 0EE30542
	v_mfma_f32_16x16x32_fp8_fp8 v[184:187], a[68:69], v[132:133], v[184:187]// 0000000132A0: D3F300B8 0EE30944
	v_mfma_f32_16x16x32_fp8_fp8 v[184:187], a[70:71], v[134:135], v[184:187]// 0000000132A8: D3F300B8 0EE30D46
	v_mfma_f32_16x16x32_fp8_fp8 v[184:187], a[72:73], v[136:137], v[184:187]// 0000000132B0: D3F300B8 0EE31148
	v_mfma_f32_16x16x32_fp8_fp8 v[184:187], a[74:75], v[138:139], v[184:187]// 0000000132B8: D3F300B8 0EE3154A
	v_mfma_f32_16x16x32_fp8_fp8 v[184:187], a[76:77], v[140:141], v[184:187]// 0000000132C0: D3F300B8 0EE3194C
	v_mfma_f32_16x16x32_fp8_fp8 v[184:187], a[78:79], v[142:143], v[184:187]// 0000000132C8: D3F300B8 0EE31D4E
	v_mfma_f32_16x16x32_fp8_fp8 v[188:191], a[80:81], v[128:129], 0// 0000000132D0: D3F300BC 0A030150
	v_mfma_f32_16x16x32_fp8_fp8 v[188:191], a[82:83], v[130:131], v[188:191]// 0000000132D8: D3F300BC 0EF30552
	v_mfma_f32_16x16x32_fp8_fp8 v[188:191], a[84:85], v[132:133], v[188:191]// 0000000132E0: D3F300BC 0EF30954
	v_mfma_f32_16x16x32_fp8_fp8 v[188:191], a[86:87], v[134:135], v[188:191]// 0000000132E8: D3F300BC 0EF30D56
	v_mfma_f32_16x16x32_fp8_fp8 v[188:191], a[88:89], v[136:137], v[188:191]// 0000000132F0: D3F300BC 0EF31158
	v_mfma_f32_16x16x32_fp8_fp8 v[188:191], a[90:91], v[138:139], v[188:191]// 0000000132F8: D3F300BC 0EF3155A
	v_mfma_f32_16x16x32_fp8_fp8 v[188:191], a[92:93], v[140:141], v[188:191]// 000000013300: D3F300BC 0EF3195C
	v_mfma_f32_16x16x32_fp8_fp8 v[188:191], a[94:95], v[142:143], v[188:191]// 000000013308: D3F300BC 0EF31D5E
	v_mfma_f32_16x16x32_fp8_fp8 v[192:195], a[64:65], v[144:145], 0// 000000013310: D3F300C0 0A032140
	v_mfma_f32_16x16x32_fp8_fp8 v[192:195], a[66:67], v[146:147], v[192:195]// 000000013318: D3F300C0 0F032542
	v_mfma_f32_16x16x32_fp8_fp8 v[192:195], a[68:69], v[148:149], v[192:195]// 000000013320: D3F300C0 0F032944
	v_mfma_f32_16x16x32_fp8_fp8 v[192:195], a[70:71], v[150:151], v[192:195]// 000000013328: D3F300C0 0F032D46
	v_mfma_f32_16x16x32_fp8_fp8 v[192:195], a[72:73], v[152:153], v[192:195]// 000000013330: D3F300C0 0F033148
	v_mfma_f32_16x16x32_fp8_fp8 v[192:195], a[74:75], v[154:155], v[192:195]// 000000013338: D3F300C0 0F03354A
	v_mfma_f32_16x16x32_fp8_fp8 v[192:195], a[76:77], v[156:157], v[192:195]// 000000013340: D3F300C0 0F03394C
	v_mfma_f32_16x16x32_fp8_fp8 v[192:195], a[78:79], v[158:159], v[192:195]// 000000013348: D3F300C0 0F033D4E
	v_mfma_f32_16x16x32_fp8_fp8 v[196:199], a[80:81], v[144:145], 0// 000000013350: D3F300C4 0A032150
	v_mfma_f32_16x16x32_fp8_fp8 v[196:199], a[82:83], v[146:147], v[196:199]// 000000013358: D3F300C4 0F132552
	v_mfma_f32_16x16x32_fp8_fp8 v[196:199], a[84:85], v[148:149], v[196:199]// 000000013360: D3F300C4 0F132954
	v_mfma_f32_16x16x32_fp8_fp8 v[196:199], a[86:87], v[150:151], v[196:199]// 000000013368: D3F300C4 0F132D56
	v_mfma_f32_16x16x32_fp8_fp8 v[196:199], a[88:89], v[152:153], v[196:199]// 000000013370: D3F300C4 0F133158
	v_mfma_f32_16x16x32_fp8_fp8 v[196:199], a[90:91], v[154:155], v[196:199]// 000000013378: D3F300C4 0F13355A
	v_mfma_f32_16x16x32_fp8_fp8 v[196:199], a[92:93], v[156:157], v[196:199]// 000000013380: D3F300C4 0F13395C
	v_mfma_f32_16x16x32_fp8_fp8 v[196:199], a[94:95], v[158:159], v[196:199]// 000000013388: D3F300C4 0F133D5E
	v_add_u32_e32 v1, s56, v1                                  // 000000013390: 68020238
	s_addk_i32 s70, 0x100                                      // 000000013394: B7460100
	s_cmp_lt_i32 s70, s71                                      // 000000013398: BF044746
	s_cbranch_scc0 label_3E2F                                  // 00000001339C: BF84F9C7
	s_waitcnt vmcnt(8) lgkmcnt(0)                              // 0000000133A0: BF8C0078
	v_mul_u32_u24_dpp v64, v16, v54 row_newbcast:0 row_mask:0xf bank_mask:0xf// 0000000133A4: 10806CFA FF015010
	v_mul_u32_u24_dpp v65, v16, v54 row_newbcast:4 row_mask:0xf bank_mask:0xf// 0000000133AC: 10826CFA FF015410
	v_mul_u32_u24_dpp v66, v16, v54 row_newbcast:8 row_mask:0xf bank_mask:0xf// 0000000133B4: 10846CFA FF015810
	v_mul_u32_u24_dpp v67, v16, v54 row_newbcast:12 row_mask:0xf bank_mask:0xf// 0000000133BC: 10866CFA FF015C10
	v_add_u32_e32 v22, v64, v5                                 // 0000000133C4: 682C0B40
	v_add_u32_e32 v23, v65, v5                                 // 0000000133C8: 682E0B41
	v_add_u32_e32 v24, v66, v5                                 // 0000000133CC: 68300B42
	v_add_u32_e32 v25, v67, v5                                 // 0000000133D0: 68320B43
	v_mul_u32_u24_dpp v64, v16, v63 quad_perm:[0,0,0,0] row_mask:0xf bank_mask:0xf// 0000000133D4: 10807EFA FF000010
	v_add_u32_e32 v2, v64, v59                                 // 0000000133DC: 68047740
	v_mul_u32_u24_dpp v64, v16, v63 quad_perm:[0,0,0,0] row_mask:0xf bank_mask:0xf// 0000000133E0: 10807EFA FF000010
	v_add_u32_e32 v55, v64, v60                                // 0000000133E8: 686E7940
	v_mfma_f32_16x16x32_fp8_fp8 v[112:115], a[32:33], v[80:81], 0// 0000000133EC: D3F30070 0A02A120
	buffer_load_dwordx4 a[0:3], v22, s[16:19], 0 offen         // 0000000133F4: E05C1000 80840016
	v_mfma_f32_16x16x32_fp8_fp8 v[112:115], a[34:35], v[82:83], v[112:115]// 0000000133FC: D3F30070 0DC2A522
	v_mfma_f32_16x16x32_fp8_fp8 v[112:115], a[36:37], v[84:85], v[112:115]// 000000013404: D3F30070 0DC2A924
	buffer_load_dword v17, v1, s[24:27], 0 offen               // 00000001340C: E0501000 80061101
	v_mfma_f32_16x16x32_fp8_fp8 v[112:115], a[38:39], v[86:87], v[112:115]// 000000013414: D3F30070 0DC2AD26
	v_mfma_f32_16x16x32_fp8_fp8 v[116:119], a[40:41], v[80:81], 0// 00000001341C: D3F30074 0A02A128
	buffer_load_dwordx4 a[4:7], v22, s[16:19], 0 offen offset:1024// 000000013424: E05C1400 80840416
	v_mfma_f32_16x16x32_fp8_fp8 v[116:119], a[42:43], v[82:83], v[116:119]// 00000001342C: D3F30074 0DD2A52A
	v_mfma_f32_16x16x32_fp8_fp8 v[116:119], a[44:45], v[84:85], v[116:119]// 000000013434: D3F30074 0DD2A92C
	v_mfma_f32_16x16x32_fp8_fp8 v[116:119], a[46:47], v[86:87], v[116:119]// 00000001343C: D3F30074 0DD2AD2E
	v_mfma_f32_16x16x32_fp8_fp8 v[120:123], a[48:49], v[80:81], 0// 000000013444: D3F30078 0A02A130
	buffer_load_dwordx4 a[8:11], v23, s[16:19], 0 offen        // 00000001344C: E05C1000 80840817
	v_mfma_f32_16x16x32_fp8_fp8 v[120:123], a[50:51], v[82:83], v[120:123]// 000000013454: D3F30078 0DE2A532
	v_mfma_f32_16x16x32_fp8_fp8 v[120:123], a[52:53], v[84:85], v[120:123]// 00000001345C: D3F30078 0DE2A934
	v_mfma_f32_16x16x32_fp8_fp8 v[120:123], a[54:55], v[86:87], v[120:123]// 000000013464: D3F30078 0DE2AD36
	v_mfma_f32_16x16x32_fp8_fp8 v[124:127], a[56:57], v[80:81], 0// 00000001346C: D3F3007C 0A02A138
	buffer_load_dwordx4 a[12:15], v23, s[16:19], 0 offen offset:1024// 000000013474: E05C1400 80840C17
	v_mfma_f32_16x16x32_fp8_fp8 v[124:127], a[58:59], v[82:83], v[124:127]// 00000001347C: D3F3007C 0DF2A53A
	v_mfma_f32_16x16x32_fp8_fp8 v[124:127], a[60:61], v[84:85], v[124:127]// 000000013484: D3F3007C 0DF2A93C
	v_mfma_f32_16x16x32_fp8_fp8 v[124:127], a[62:63], v[86:87], v[124:127]// 00000001348C: D3F3007C 0DF2AD3E
	v_mfma_f32_16x16x32_fp8_fp8 v[128:131], a[32:33], v[88:89], 0// 000000013494: D3F30080 0A02B120
	v_mfma_f32_16x16x32_fp8_fp8 v[128:131], a[34:35], v[90:91], v[128:131]// 00000001349C: D3F30080 0E02B522
	v_mfma_f32_16x16x32_fp8_fp8 v[128:131], a[36:37], v[92:93], v[128:131]// 0000000134A4: D3F30080 0E02B924
	v_mfma_f32_16x16x32_fp8_fp8 v[128:131], a[38:39], v[94:95], v[128:131]// 0000000134AC: D3F30080 0E02BD26
	v_mfma_f32_16x16x32_fp8_fp8 v[132:135], a[40:41], v[88:89], 0// 0000000134B4: D3F30084 0A02B128
	v_mfma_f32_16x16x32_fp8_fp8 v[132:135], a[42:43], v[90:91], v[132:135]// 0000000134BC: D3F30084 0E12B52A
	v_mfma_f32_16x16x32_fp8_fp8 v[132:135], a[44:45], v[92:93], v[132:135]// 0000000134C4: D3F30084 0E12B92C
	v_mfma_f32_16x16x32_fp8_fp8 v[132:135], a[46:47], v[94:95], v[132:135]// 0000000134CC: D3F30084 0E12BD2E
	v_mfma_f32_16x16x32_fp8_fp8 v[136:139], a[48:49], v[88:89], 0// 0000000134D4: D3F30088 0A02B130
	v_mfma_f32_16x16x32_fp8_fp8 v[136:139], a[50:51], v[90:91], v[136:139]// 0000000134DC: D3F30088 0E22B532
	v_mfma_f32_16x16x32_fp8_fp8 v[136:139], a[52:53], v[92:93], v[136:139]// 0000000134E4: D3F30088 0E22B934
	v_mfma_f32_16x16x32_fp8_fp8 v[136:139], a[54:55], v[94:95], v[136:139]// 0000000134EC: D3F30088 0E22BD36
	v_mfma_f32_16x16x32_fp8_fp8 v[140:143], a[56:57], v[88:89], 0// 0000000134F4: D3F3008C 0A02B138
	v_mfma_f32_16x16x32_fp8_fp8 v[140:143], a[58:59], v[90:91], v[140:143]// 0000000134FC: D3F3008C 0E32B53A
	v_mfma_f32_16x16x32_fp8_fp8 v[140:143], a[60:61], v[92:93], v[140:143]// 000000013504: D3F3008C 0E32B93C
	v_mfma_f32_16x16x32_fp8_fp8 v[140:143], a[62:63], v[94:95], v[140:143]// 00000001350C: D3F3008C 0E32BD3E
	v_mfma_f32_16x16x32_fp8_fp8 v[144:147], a[32:33], v[96:97], 0// 000000013514: D3F30090 0A02C120
	v_mfma_f32_16x16x32_fp8_fp8 v[144:147], a[34:35], v[98:99], v[144:147]// 00000001351C: D3F30090 0E42C522
	v_mfma_f32_16x16x32_fp8_fp8 v[144:147], a[36:37], v[100:101], v[144:147]// 000000013524: D3F30090 0E42C924
	v_mfma_f32_16x16x32_fp8_fp8 v[144:147], a[38:39], v[102:103], v[144:147]// 00000001352C: D3F30090 0E42CD26
	v_mfma_f32_16x16x32_fp8_fp8 v[148:151], a[40:41], v[96:97], 0// 000000013534: D3F30094 0A02C128
	v_mfma_f32_16x16x32_fp8_fp8 v[148:151], a[42:43], v[98:99], v[148:151]// 00000001353C: D3F30094 0E52C52A
	v_mfma_f32_16x16x32_fp8_fp8 v[148:151], a[44:45], v[100:101], v[148:151]// 000000013544: D3F30094 0E52C92C
	v_mfma_f32_16x16x32_fp8_fp8 v[148:151], a[46:47], v[102:103], v[148:151]// 00000001354C: D3F30094 0E52CD2E
	v_mfma_f32_16x16x32_fp8_fp8 v[152:155], a[48:49], v[96:97], 0// 000000013554: D3F30098 0A02C130
	v_mfma_f32_16x16x32_fp8_fp8 v[152:155], a[50:51], v[98:99], v[152:155]// 00000001355C: D3F30098 0E62C532
	v_mfma_f32_16x16x32_fp8_fp8 v[152:155], a[52:53], v[100:101], v[152:155]// 000000013564: D3F30098 0E62C934
	v_mfma_f32_16x16x32_fp8_fp8 v[152:155], a[54:55], v[102:103], v[152:155]// 00000001356C: D3F30098 0E62CD36
	v_mfma_f32_16x16x32_fp8_fp8 v[156:159], a[56:57], v[96:97], 0// 000000013574: D3F3009C 0A02C138
	v_mfma_f32_16x16x32_fp8_fp8 v[156:159], a[58:59], v[98:99], v[156:159]// 00000001357C: D3F3009C 0E72C53A
	v_mfma_f32_16x16x32_fp8_fp8 v[156:159], a[60:61], v[100:101], v[156:159]// 000000013584: D3F3009C 0E72C93C
	v_mfma_f32_16x16x32_fp8_fp8 v[156:159], a[62:63], v[102:103], v[156:159]// 00000001358C: D3F3009C 0E72CD3E
	buffer_load_dword v42, v2, s[32:35], 0 offen               // 000000013594: E0501000 80082A02
	v_mov_b32_dpp v64, v43 row_shr:4 row_mask:0xf bank_mask:0xf// 00000001359C: 7E8002FA FF01142B
	v_mov_b32_dpp v65, v43 row_shl:4 row_mask:0xf bank_mask:0xf// 0000000135A4: 7E8202FA FF01042B
	v_cndmask_b32_e64 v248, v43, v64, s[44:45]                 // 0000000135AC: D10000F8 00B2812B
	v_cndmask_b32_e64 v249, v65, v43, s[44:45]                 // 0000000135B4: D10000F9 00B25741
	v_mov_b32_dpp v64, v248 row_shr:8 row_mask:0xf bank_mask:0xf// 0000000135BC: 7E8002FA FF0118F8
	v_mov_b32_dpp v65, v248 row_shl:8 row_mask:0xf bank_mask:0xf// 0000000135C4: 7E8202FA FF0108F8
	v_mov_b32_dpp v66, v249 row_shr:8 row_mask:0xf bank_mask:0xf// 0000000135CC: 7E8402FA FF0118F9
	v_mov_b32_dpp v67, v249 row_shl:8 row_mask:0xf bank_mask:0xf// 0000000135D4: 7E8602FA FF0108F9
	v_mov_b32_e32 v68, v248                                    // 0000000135DC: 7E8803F8
	v_mov_b32_e32 v69, v249                                    // 0000000135E0: 7E8A03F9
	v_cndmask_b32_e64 v248, v68, v64, s[42:43]                 // 0000000135E4: D10000F8 00AA8144
	v_cndmask_b32_e64 v250, v68, v65, s[78:79]                 // 0000000135EC: D10000FA 013A8344
	v_cndmask_b32_e64 v249, v69, v66, s[42:43]                 // 0000000135F4: D10000F9 00AA8545
	v_cndmask_b32_e64 v251, v69, v67, s[78:79]                 // 0000000135FC: D10000FB 013A8745
	v_mov_b32_dpp v64, v58 row_shr:4 row_mask:0xf bank_mask:0xf// 000000013604: 7E8002FA FF01143A
	v_mov_b32_dpp v65, v58 row_shl:4 row_mask:0xf bank_mask:0xf// 00000001360C: 7E8202FA FF01043A
	v_cndmask_b32_e64 v252, v58, v64, s[44:45]                 // 000000013614: D10000FC 00B2813A
	v_cndmask_b32_e64 v253, v65, v58, s[44:45]                 // 00000001361C: D10000FD 00B27541
	v_mov_b32_dpp v64, v252 row_shr:8 row_mask:0xf bank_mask:0xf// 000000013624: 7E8002FA FF0118FC
	v_mov_b32_dpp v65, v252 row_shl:8 row_mask:0xf bank_mask:0xf// 00000001362C: 7E8202FA FF0108FC
	v_mov_b32_dpp v66, v253 row_shr:8 row_mask:0xf bank_mask:0xf// 000000013634: 7E8402FA FF0118FD
	v_mov_b32_dpp v67, v253 row_shl:8 row_mask:0xf bank_mask:0xf// 00000001363C: 7E8602FA FF0108FD
	v_mov_b32_e32 v68, v252                                    // 000000013644: 7E8803FC
	v_mov_b32_e32 v69, v253                                    // 000000013648: 7E8A03FD
	v_cndmask_b32_e64 v252, v68, v64, s[42:43]                 // 00000001364C: D10000FC 00AA8144
	v_cndmask_b32_e64 v254, v68, v65, s[78:79]                 // 000000013654: D10000FE 013A8344
	v_cndmask_b32_e64 v253, v69, v66, s[42:43]                 // 00000001365C: D10000FD 00AA8545
	v_cndmask_b32_e64 v255, v69, v67, s[78:79]                 // 000000013664: D10000FF 013A8745
	buffer_load_dword v57, v55, s[36:39], 0 offen              // 00000001366C: E0501000 80093937
	v_mul_f32_e32 v112, v18, v112                              // 000000013674: 0AE0E112
	v_mul_f32_e32 v113, v18, v113                              // 000000013678: 0AE2E312
	v_mul_f32_e32 v114, v18, v114                              // 00000001367C: 0AE4E512
	v_mul_f32_e32 v115, v18, v115                              // 000000013680: 0AE6E712
	v_mul_f32_e32 v116, v18, v116                              // 000000013684: 0AE8E912
	v_mul_f32_e32 v117, v18, v117                              // 000000013688: 0AEAEB12
	v_mul_f32_e32 v118, v18, v118                              // 00000001368C: 0AECED12
	v_mul_f32_e32 v119, v18, v119                              // 000000013690: 0AEEEF12
	v_mul_f32_e32 v120, v18, v120                              // 000000013694: 0AF0F112
	v_mul_f32_e32 v121, v18, v121                              // 000000013698: 0AF2F312
	v_mul_f32_e32 v122, v18, v122                              // 00000001369C: 0AF4F512
	v_mul_f32_e32 v123, v18, v123                              // 0000000136A0: 0AF6F712
	v_mul_f32_e32 v124, v18, v124                              // 0000000136A4: 0AF8F912
	v_mul_f32_e32 v125, v18, v125                              // 0000000136A8: 0AFAFB12
	v_mul_f32_e32 v126, v18, v126                              // 0000000136AC: 0AFCFD12
	v_mul_f32_e32 v127, v18, v127                              // 0000000136B0: 0AFEFF12
	buffer_load_dwordx4 a[16:19], v24, s[16:19], 0 offen       // 0000000136B4: E05C1000 80841018
	v_mul_f32_dpp v112, v248, v112 quad_perm:[0,0,0,0] row_mask:0xf bank_mask:0xf// 0000000136BC: 0AE0E0FA FF0000F8
	v_mul_f32_dpp v113, v248, v113 quad_perm:[1,1,1,1] row_mask:0xf bank_mask:0xf// 0000000136C4: 0AE2E2FA FF0055F8
	v_mul_f32_dpp v114, v248, v114 quad_perm:[2,2,2,2] row_mask:0xf bank_mask:0xf// 0000000136CC: 0AE4E4FA FF00AAF8
	v_mul_f32_dpp v115, v248, v115 quad_perm:[3,3,3,3] row_mask:0xf bank_mask:0xf// 0000000136D4: 0AE6E6FA FF00FFF8
	v_mul_f32_dpp v116, v249, v116 quad_perm:[0,0,0,0] row_mask:0xf bank_mask:0xf// 0000000136DC: 0AE8E8FA FF0000F9
	v_mul_f32_dpp v117, v249, v117 quad_perm:[1,1,1,1] row_mask:0xf bank_mask:0xf// 0000000136E4: 0AEAEAFA FF0055F9
	v_mul_f32_dpp v118, v249, v118 quad_perm:[2,2,2,2] row_mask:0xf bank_mask:0xf// 0000000136EC: 0AECECFA FF00AAF9
	v_mul_f32_dpp v119, v249, v119 quad_perm:[3,3,3,3] row_mask:0xf bank_mask:0xf// 0000000136F4: 0AEEEEFA FF00FFF9
	v_mul_f32_dpp v120, v250, v120 quad_perm:[0,0,0,0] row_mask:0xf bank_mask:0xf// 0000000136FC: 0AF0F0FA FF0000FA
	v_mul_f32_dpp v121, v250, v121 quad_perm:[1,1,1,1] row_mask:0xf bank_mask:0xf// 000000013704: 0AF2F2FA FF0055FA
	v_mul_f32_dpp v122, v250, v122 quad_perm:[2,2,2,2] row_mask:0xf bank_mask:0xf// 00000001370C: 0AF4F4FA FF00AAFA
	v_mul_f32_dpp v123, v250, v123 quad_perm:[3,3,3,3] row_mask:0xf bank_mask:0xf// 000000013714: 0AF6F6FA FF00FFFA
	v_mul_f32_dpp v124, v251, v124 quad_perm:[0,0,0,0] row_mask:0xf bank_mask:0xf// 00000001371C: 0AF8F8FA FF0000FB
	v_mul_f32_dpp v125, v251, v125 quad_perm:[1,1,1,1] row_mask:0xf bank_mask:0xf// 000000013724: 0AFAFAFA FF0055FB
	v_mul_f32_dpp v126, v251, v126 quad_perm:[2,2,2,2] row_mask:0xf bank_mask:0xf// 00000001372C: 0AFCFCFA FF00AAFB
	v_mul_f32_dpp v127, v251, v127 quad_perm:[3,3,3,3] row_mask:0xf bank_mask:0xf// 000000013734: 0AFEFEFA FF00FFFB
	buffer_load_dwordx4 a[20:23], v24, s[16:19], 0 offen offset:1024// 00000001373C: E05C1400 80841418
	v_mov_b32_e32 v48, v112                                    // 000000013744: 7E600370
	v_max3_f32 v48, v112, v113, v48                            // 000000013748: D1D30030 04C2E370
	v_max3_f32 v48, v114, v115, v48                            // 000000013750: D1D30030 04C2E772
	v_max3_f32 v48, v116, v117, v48                            // 000000013758: D1D30030 04C2EB74
	v_max3_f32 v48, v118, v119, v48                            // 000000013760: D1D30030 04C2EF76
	v_max3_f32 v48, v120, v121, v48                            // 000000013768: D1D30030 04C2F378
	v_max3_f32 v48, v122, v123, v48                            // 000000013770: D1D30030 04C2F77A
	v_max3_f32 v48, v124, v125, v48                            // 000000013778: D1D30030 04C2FB7C
	v_max3_f32 v48, v126, v127, v48                            // 000000013780: D1D30030 04C2FF7E
	ds_write_b32 v8, v48 offset:16896                          // 000000013788: D81A4200 00003008
	buffer_load_dwordx4 a[24:27], v25, s[16:19], 0 offen       // 000000013790: E05C1000 80841819
	v_mul_u32_u24_dpp v64, v16, v54 row_newbcast:1 row_mask:0xf bank_mask:0xf// 000000013798: 10806CFA FF015110
	v_mul_u32_u24_dpp v65, v16, v54 row_newbcast:5 row_mask:0xf bank_mask:0xf// 0000000137A0: 10826CFA FF015510
	v_mul_u32_u24_dpp v66, v16, v54 row_newbcast:9 row_mask:0xf bank_mask:0xf// 0000000137A8: 10846CFA FF015910
	v_mul_u32_u24_dpp v67, v16, v54 row_newbcast:13 row_mask:0xf bank_mask:0xf// 0000000137B0: 10866CFA FF015D10
	v_add_u32_e32 v30, v64, v6                                 // 0000000137B8: 683C0D40
	v_add_u32_e32 v31, v65, v6                                 // 0000000137BC: 683E0D41
	v_add_u32_e32 v32, v66, v6                                 // 0000000137C0: 68400D42
	v_add_u32_e32 v33, v67, v6                                 // 0000000137C4: 68420D43
	v_mul_f32_e32 v208, v49, v208                              // 0000000137C8: 0BA1A131
	v_mul_f32_e32 v209, v49, v209                              // 0000000137CC: 0BA3A331
	v_mul_f32_e32 v210, v49, v210                              // 0000000137D0: 0BA5A531
	v_mul_f32_e32 v211, v49, v211                              // 0000000137D4: 0BA7A731
	v_mul_f32_e32 v212, v49, v212                              // 0000000137D8: 0BA9A931
	v_mul_f32_e32 v213, v49, v213                              // 0000000137DC: 0BABAB31
	v_mul_f32_e32 v214, v49, v214                              // 0000000137E0: 0BADAD31
	v_mul_f32_e32 v215, v49, v215                              // 0000000137E4: 0BAFAF31
	s_waitcnt lgkmcnt(0)                                       // 0000000137E8: BF8CC07F
	s_barrier                                                  // 0000000137EC: BF8A0000
	ds_read_b32 v64, v7 offset:16896                           // 0000000137F0: D86C4200 40000007
	ds_read_b32 v65, v7 offset:16960                           // 0000000137F8: D86C4240 41000007
	ds_read_b32 v66, v7 offset:17024                           // 000000013800: D86C4280 42000007
	ds_read_b32 v67, v7 offset:17088                           // 000000013808: D86C42C0 43000007
	ds_read_b32 v68, v7 offset:17152                           // 000000013810: D86C4300 44000007
	ds_read_b32 v69, v7 offset:17216                           // 000000013818: D86C4340 45000007
	ds_read_b32 v70, v7 offset:17280                           // 000000013820: D86C4380 46000007
	ds_read_b32 v71, v7 offset:17344                           // 000000013828: D86C43C0 47000007
	ds_read_b32 v72, v7 offset:17408                           // 000000013830: D86C4400 48000007
	ds_read_b32 v73, v7 offset:17472                           // 000000013838: D86C4440 49000007
	ds_read_b32 v74, v7 offset:17536                           // 000000013840: D86C4480 4A000007
	ds_read_b32 v75, v7 offset:17600                           // 000000013848: D86C44C0 4B000007
	ds_read_b32 v76, v7 offset:17664                           // 000000013850: D86C4500 4C000007
	ds_read_b32 v77, v7 offset:17728                           // 000000013858: D86C4540 4D000007
	ds_read_b32 v78, v7 offset:17792                           // 000000013860: D86C4580 4E000007
	ds_read_b32 v79, v7 offset:17856                           // 000000013868: D86C45C0 4F000007
	buffer_load_dwordx4 a[28:31], v25, s[16:19], 0 offen offset:1024// 000000013870: E05C1400 80841C19
	v_mul_f32_e32 v176, v44, v176                              // 000000013878: 0B61612C
	v_mul_f32_e32 v177, v44, v177                              // 00000001387C: 0B63632C
	v_mul_f32_e32 v178, v44, v178                              // 000000013880: 0B65652C
	v_mul_f32_e32 v179, v44, v179                              // 000000013884: 0B67672C
	v_mul_f32_e32 v180, v44, v180                              // 000000013888: 0B69692C
	v_mul_f32_e32 v181, v44, v181                              // 00000001388C: 0B6B6B2C
	v_mul_f32_e32 v182, v44, v182                              // 000000013890: 0B6D6D2C
	v_mul_f32_e32 v183, v44, v183                              // 000000013894: 0B6F6F2C
	s_waitcnt lgkmcnt(0)                                       // 000000013898: BF8CC07F
	v_max3_f32 v48, v64, v65, v48                              // 00000001389C: D1D30030 04C28340
	v_max3_f32 v48, v66, v67, v48                              // 0000000138A4: D1D30030 04C28742
	v_max3_f32 v48, v68, v69, v48                              // 0000000138AC: D1D30030 04C28B44
	v_max3_f32 v48, v70, v71, v48                              // 0000000138B4: D1D30030 04C28F46
	v_max3_f32 v48, v72, v73, v48                              // 0000000138BC: D1D30030 04C29348
	v_max3_f32 v48, v74, v75, v48                              // 0000000138C4: D1D30030 04C2974A
	v_max3_f32 v48, v76, v77, v48                              // 0000000138CC: D1D30030 04C29B4C
	v_max3_f32 v48, v78, v79, v48                              // 0000000138D4: D1D30030 04C29F4E
	buffer_load_dwordx4 a[64:67], v30, s[20:23], 0 offen       // 0000000138DC: E05C1000 8085401E
	v_mov_b32_e32 v64, 0xff800000                              // 0000000138E4: 7E8002FF FF800000
	v_cmp_eq_u32_e64 s[40:41], v64, v11                        // 0000000138EC: D0CA0028 00021740
	s_nop 1                                                    // 0000000138F4: BF800001
	v_max_f32_e32 v15, v48, v11                                // 0000000138F8: 161E1730
	v_mul_f32_e32 v53, s64, v15                                // 0000000138FC: 0A6A1E40
	v_fma_f32 v112, v112, s64, -v53                            // 000000013900: D1CB0070 84D48170
	v_fma_f32 v113, v113, s64, -v53                            // 000000013908: D1CB0071 84D48171
	v_fma_f32 v114, v114, s64, -v53                            // 000000013910: D1CB0072 84D48172
	v_fma_f32 v115, v115, s64, -v53                            // 000000013918: D1CB0073 84D48173
	v_fma_f32 v116, v116, s64, -v53                            // 000000013920: D1CB0074 84D48174
	v_fma_f32 v117, v117, s64, -v53                            // 000000013928: D1CB0075 84D48175
	v_fma_f32 v118, v118, s64, -v53                            // 000000013930: D1CB0076 84D48176
	v_fma_f32 v119, v119, s64, -v53                            // 000000013938: D1CB0077 84D48177
	v_fma_f32 v120, v120, s64, -v53                            // 000000013940: D1CB0078 84D48178
	v_fma_f32 v121, v121, s64, -v53                            // 000000013948: D1CB0079 84D48179
	v_fma_f32 v122, v122, s64, -v53                            // 000000013950: D1CB007A 84D4817A
	v_fma_f32 v123, v123, s64, -v53                            // 000000013958: D1CB007B 84D4817B
	v_fma_f32 v124, v124, s64, -v53                            // 000000013960: D1CB007C 84D4817C
	v_fma_f32 v125, v125, s64, -v53                            // 000000013968: D1CB007D 84D4817D
	v_fma_f32 v126, v126, s64, -v53                            // 000000013970: D1CB007E 84D4817E
	v_fma_f32 v127, v127, s64, -v53                            // 000000013978: D1CB007F 84D4817F
	buffer_load_dwordx4 a[68:71], v31, s[20:23], 0 offen       // 000000013980: E05C1000 8085441F
	v_exp_f32_e32 v112, v112                                   // 000000013988: 7EE04170
	v_exp_f32_e32 v113, v113                                   // 00000001398C: 7EE24171
	v_exp_f32_e32 v114, v114                                   // 000000013990: 7EE44172
	v_exp_f32_e32 v115, v115                                   // 000000013994: 7EE64173
	v_exp_f32_e32 v116, v116                                   // 000000013998: 7EE84174
	v_exp_f32_e32 v117, v117                                   // 00000001399C: 7EEA4175
	v_exp_f32_e32 v118, v118                                   // 0000000139A0: 7EEC4176
	v_exp_f32_e32 v119, v119                                   // 0000000139A4: 7EEE4177
	v_exp_f32_e32 v120, v120                                   // 0000000139A8: 7EF04178
	v_exp_f32_e32 v121, v121                                   // 0000000139AC: 7EF24179
	v_exp_f32_e32 v122, v122                                   // 0000000139B0: 7EF4417A
	v_exp_f32_e32 v123, v123                                   // 0000000139B4: 7EF6417B
	v_exp_f32_e32 v124, v124                                   // 0000000139B8: 7EF8417C
	v_exp_f32_e32 v125, v125                                   // 0000000139BC: 7EFA417D
	v_exp_f32_e32 v126, v126                                   // 0000000139C0: 7EFC417E
	v_exp_f32_e32 v127, v127                                   // 0000000139C4: 7EFE417F
	buffer_load_dwordx4 a[72:75], v32, s[20:23], 0 offen       // 0000000139C8: E05C1000 80854820
	v_mul_f32_dpp v240, v252, v112 quad_perm:[0,0,0,0] row_mask:0xf bank_mask:0xf// 0000000139D0: 0BE0E0FA FF0000FC
	v_mul_f32_dpp v241, v252, v113 quad_perm:[1,1,1,1] row_mask:0xf bank_mask:0xf// 0000000139D8: 0BE2E2FA FF0055FC
	v_mul_f32_dpp v242, v252, v114 quad_perm:[2,2,2,2] row_mask:0xf bank_mask:0xf// 0000000139E0: 0BE4E4FA FF00AAFC
	v_mul_f32_dpp v243, v252, v115 quad_perm:[3,3,3,3] row_mask:0xf bank_mask:0xf// 0000000139E8: 0BE6E6FA FF00FFFC
	v_mul_f32_dpp v244, v253, v116 quad_perm:[0,0,0,0] row_mask:0xf bank_mask:0xf// 0000000139F0: 0BE8E8FA FF0000FD
	v_mul_f32_dpp v245, v253, v117 quad_perm:[1,1,1,1] row_mask:0xf bank_mask:0xf// 0000000139F8: 0BEAEAFA FF0055FD
	v_mul_f32_dpp v246, v253, v118 quad_perm:[2,2,2,2] row_mask:0xf bank_mask:0xf// 000000013A00: 0BECECFA FF00AAFD
	v_mul_f32_dpp v247, v253, v119 quad_perm:[3,3,3,3] row_mask:0xf bank_mask:0xf// 000000013A08: 0BEEEEFA FF00FFFD
	v_mul_f32_dpp v248, v254, v120 quad_perm:[0,0,0,0] row_mask:0xf bank_mask:0xf// 000000013A10: 0BF0F0FA FF0000FE
	v_mul_f32_dpp v249, v254, v121 quad_perm:[1,1,1,1] row_mask:0xf bank_mask:0xf// 000000013A18: 0BF2F2FA FF0055FE
	v_mul_f32_dpp v250, v254, v122 quad_perm:[2,2,2,2] row_mask:0xf bank_mask:0xf// 000000013A20: 0BF4F4FA FF00AAFE
	v_mul_f32_dpp v251, v254, v123 quad_perm:[3,3,3,3] row_mask:0xf bank_mask:0xf// 000000013A28: 0BF6F6FA FF00FFFE
	v_mul_f32_dpp v252, v255, v124 quad_perm:[0,0,0,0] row_mask:0xf bank_mask:0xf// 000000013A30: 0BF8F8FA FF0000FF
	v_mul_f32_dpp v253, v255, v125 quad_perm:[1,1,1,1] row_mask:0xf bank_mask:0xf// 000000013A38: 0BFAFAFA FF0055FF
	v_mul_f32_dpp v254, v255, v126 quad_perm:[2,2,2,2] row_mask:0xf bank_mask:0xf// 000000013A40: 0BFCFCFA FF00AAFF
	v_mul_f32_dpp v255, v255, v127 quad_perm:[3,3,3,3] row_mask:0xf bank_mask:0xf// 000000013A48: 0BFEFEFA FF00FFFF
	v_mov_b32_e32 v48, 0x358637bd                              // 000000013A50: 7E6002FF 358637BD
	v_max3_f32 v48, |v240|, |v241|, v48                        // 000000013A58: D1D30330 04C3E3F0
	v_max3_f32 v48, |v242|, |v243|, v48                        // 000000013A60: D1D30330 04C3E7F2
	v_max3_f32 v48, |v244|, |v245|, v48                        // 000000013A68: D1D30330 04C3EBF4
	v_max3_f32 v48, |v246|, |v247|, v48                        // 000000013A70: D1D30330 04C3EFF6
	v_max3_f32 v48, |v248|, |v249|, v48                        // 000000013A78: D1D30330 04C3F3F8
	v_max3_f32 v48, |v250|, |v251|, v48                        // 000000013A80: D1D30330 04C3F7FA
	v_max3_f32 v48, |v252|, |v253|, v48                        // 000000013A88: D1D30330 04C3FBFC
	v_max3_f32 v48, |v254|, |v255|, v48                        // 000000013A90: D1D30330 04C3FFFE
	buffer_load_dwordx4 a[76:79], v33, s[20:23], 0 offen       // 000000013A98: E05C1000 80854C21
	ds_write_b32 v8, v48 offset:20992                          // 000000013AA0: D81A5200 00003008
	v_sub_f32_e32 v49, v11, v15                                // 000000013AA8: 04621F0B
	v_cndmask_b32_e64 v49, v49, 0, s[40:41]                    // 000000013AAC: D1000031 00A10131
	v_mov_b32_e32 v11, v15                                     // 000000013AB4: 7E16030F
	v_mul_f32_e32 v49, s64, v49                                // 000000013AB8: 0A626240
	v_exp_f32_e32 v49, v49                                     // 000000013ABC: 7E624131
	s_waitcnt lgkmcnt(0)                                       // 000000013AC0: BF8CC07F
	s_barrier                                                  // 000000013AC4: BF8A0000
	ds_read_b32 v64, v7 offset:20992                           // 000000013AC8: D86C5200 40000007
	ds_read_b32 v65, v7 offset:21056                           // 000000013AD0: D86C5240 41000007
	ds_read_b32 v66, v7 offset:21120                           // 000000013AD8: D86C5280 42000007
	ds_read_b32 v67, v7 offset:21184                           // 000000013AE0: D86C52C0 43000007
	ds_read_b32 v68, v7 offset:21248                           // 000000013AE8: D86C5300 44000007
	ds_read_b32 v69, v7 offset:21312                           // 000000013AF0: D86C5340 45000007
	ds_read_b32 v70, v7 offset:21376                           // 000000013AF8: D86C5380 46000007
	ds_read_b32 v71, v7 offset:21440                           // 000000013B00: D86C53C0 47000007
	ds_read_b32 v72, v7 offset:21504                           // 000000013B08: D86C5400 48000007
	ds_read_b32 v73, v7 offset:21568                           // 000000013B10: D86C5440 49000007
	ds_read_b32 v74, v7 offset:21632                           // 000000013B18: D86C5480 4A000007
	ds_read_b32 v75, v7 offset:21696                           // 000000013B20: D86C54C0 4B000007
	ds_read_b32 v76, v7 offset:21760                           // 000000013B28: D86C5500 4C000007
	ds_read_b32 v77, v7 offset:21824                           // 000000013B30: D86C5540 4D000007
	ds_read_b32 v78, v7 offset:21888                           // 000000013B38: D86C5580 4E000007
	ds_read_b32 v79, v7 offset:21952                           // 000000013B40: D86C55C0 4F000007
	v_mul_f32_e32 v38, v49, v38                                // 000000013B48: 0A4C4D31
	v_mov_b32_e32 v15, v112                                    // 000000013B4C: 7E1E0370
	v_add_f32_e32 v15, v113, v15                               // 000000013B50: 021E1F71
	v_add_f32_e32 v15, v114, v15                               // 000000013B54: 021E1F72
	v_add_f32_e32 v15, v115, v15                               // 000000013B58: 021E1F73
	v_add_f32_e32 v15, v116, v15                               // 000000013B5C: 021E1F74
	v_add_f32_e32 v15, v117, v15                               // 000000013B60: 021E1F75
	v_add_f32_e32 v15, v118, v15                               // 000000013B64: 021E1F76
	v_add_f32_e32 v15, v119, v15                               // 000000013B68: 021E1F77
	v_add_f32_e32 v15, v120, v15                               // 000000013B6C: 021E1F78
	v_add_f32_e32 v15, v121, v15                               // 000000013B70: 021E1F79
	v_add_f32_e32 v15, v122, v15                               // 000000013B74: 021E1F7A
	v_add_f32_e32 v15, v123, v15                               // 000000013B78: 021E1F7B
	v_add_f32_e32 v15, v124, v15                               // 000000013B7C: 021E1F7C
	v_add_f32_e32 v15, v125, v15                               // 000000013B80: 021E1F7D
	v_add_f32_e32 v15, v126, v15                               // 000000013B84: 021E1F7E
	v_add_f32_e32 v15, v127, v15                               // 000000013B88: 021E1F7F
	v_add_f32_e32 v38, v15, v38                                // 000000013B8C: 024C4D0F
	s_waitcnt lgkmcnt(0)                                       // 000000013B90: BF8CC07F
	v_max3_f32 v48, |v64|, |v65|, v48                          // 000000013B94: D1D30330 04C28340
	v_max3_f32 v48, |v66|, |v67|, v48                          // 000000013B9C: D1D30330 04C28742
	v_max3_f32 v48, |v68|, |v69|, v48                          // 000000013BA4: D1D30330 04C28B44
	v_max3_f32 v48, |v70|, |v71|, v48                          // 000000013BAC: D1D30330 04C28F46
	v_max3_f32 v48, |v72|, |v73|, v48                          // 000000013BB4: D1D30330 04C29348
	v_max3_f32 v48, |v74|, |v75|, v48                          // 000000013BBC: D1D30330 04C2974A
	v_max3_f32 v48, |v76|, |v77|, v48                          // 000000013BC4: D1D30330 04C29B4C
	v_max3_f32 v48, |v78|, |v79|, v48                          // 000000013BCC: D1D30330 04C29F4E
	s_nop 2                                                    // 000000013BD4: BF800002
	v_rcp_f32_e32 v48, v48                                     // 000000013BD8: 7E604530
	s_nop 1                                                    // 000000013BDC: BF800001
	v_mul_f32_e32 v48, 0x43e00000, v48                         // 000000013BE0: 0A6060FF 43E00000
	v_mul_f32_e32 v112, v48, v240                              // 000000013BE8: 0AE1E130
	v_mul_f32_e32 v113, v48, v241                              // 000000013BEC: 0AE3E330
	v_mul_f32_e32 v114, v48, v242                              // 000000013BF0: 0AE5E530
	v_mul_f32_e32 v115, v48, v243                              // 000000013BF4: 0AE7E730
	v_mul_f32_e32 v116, v48, v244                              // 000000013BF8: 0AE9E930
	v_mul_f32_e32 v117, v48, v245                              // 000000013BFC: 0AEBEB30
	v_mul_f32_e32 v118, v48, v246                              // 000000013C00: 0AEDED30
	v_mul_f32_e32 v119, v48, v247                              // 000000013C04: 0AEFEF30
	v_mul_f32_e32 v120, v48, v248                              // 000000013C08: 0AF1F130
	v_mul_f32_e32 v121, v48, v249                              // 000000013C0C: 0AF3F330
	v_mul_f32_e32 v122, v48, v250                              // 000000013C10: 0AF5F530
	v_mul_f32_e32 v123, v48, v251                              // 000000013C14: 0AF7F730
	v_mul_f32_e32 v124, v48, v252                              // 000000013C18: 0AF9F930
	v_mul_f32_e32 v125, v48, v253                              // 000000013C1C: 0AFBFB30
	v_mul_f32_e32 v126, v48, v254                              // 000000013C20: 0AFDFD30
	v_mul_f32_e32 v127, v48, v255                              // 000000013C24: 0AFFFF30
	v_cvt_pk_fp8_f32 v112, v112, v113                          // 000000013C28: D2A20070 0002E370
	v_cvt_pk_fp8_f32 v112, v114, v115 op_sel:[0,0,1]           // 000000013C30: D2A24070 0002E772
	v_cvt_pk_fp8_f32 v113, v116, v117                          // 000000013C38: D2A20071 0002EB74
	v_cvt_pk_fp8_f32 v113, v118, v119 op_sel:[0,0,1]           // 000000013C40: D2A24071 0002EF76
	v_cvt_pk_fp8_f32 v114, v120, v121                          // 000000013C48: D2A20072 0002F378
	v_cvt_pk_fp8_f32 v114, v122, v123 op_sel:[0,0,1]           // 000000013C50: D2A24072 0002F77A
	v_cvt_pk_fp8_f32 v115, v124, v125                          // 000000013C58: D2A20073 0002FB7C
	v_cvt_pk_fp8_f32 v115, v126, v127 op_sel:[0,0,1]           // 000000013C60: D2A24073 0002FF7E
	ds_write_b32 v10, v112 offset:25088                        // 000000013C68: D81A6200 0000700A
	ds_write_b32 v10, v113 offset:26112                        // 000000013C70: D81A6600 0000710A
	ds_write_b32 v10, v114 offset:27136                        // 000000013C78: D81A6A00 0000720A
	ds_write_b32 v10, v115 offset:28160                        // 000000013C80: D81A6E00 0000730A
	v_add_f32_e32 v208, v208, v176                             // 000000013C88: 03A161D0
	v_add_f32_e32 v209, v209, v177                             // 000000013C8C: 03A363D1
	v_add_f32_e32 v210, v210, v178                             // 000000013C90: 03A565D2
	v_add_f32_e32 v211, v211, v179                             // 000000013C94: 03A767D3
	v_add_f32_e32 v212, v212, v180                             // 000000013C98: 03A969D4
	v_add_f32_e32 v213, v213, v181                             // 000000013C9C: 03AB6BD5
	v_add_f32_e32 v214, v214, v182                             // 000000013CA0: 03AD6DD6
	v_add_f32_e32 v215, v215, v183                             // 000000013CA4: 03AF6FD7
	v_rcp_f32_e32 v44, v48                                     // 000000013CA8: 7E584530
	s_waitcnt lgkmcnt(0)                                       // 000000013CAC: BF8CC07F
	s_barrier                                                  // 000000013CB0: BF8A0000
	ds_read_b64 v[112:113], v9 offset:25088                    // 000000013CB4: D8EC6200 70000009
	ds_read_b64 v[114:115], v9 offset:25216                    // 000000013CBC: D8EC6280 72000009
	ds_read_b64 v[116:117], v9 offset:26112                    // 000000013CC4: D8EC6600 74000009
	ds_read_b64 v[118:119], v9 offset:26240                    // 000000013CCC: D8EC6680 76000009
	ds_read_b64 v[120:121], v9 offset:27136                    // 000000013CD4: D8EC6A00 78000009
	ds_read_b64 v[122:123], v9 offset:27264                    // 000000013CDC: D8EC6A80 7A000009
	ds_read_b64 v[124:125], v9 offset:28160                    // 000000013CE4: D8EC6E00 7C000009
	ds_read_b64 v[126:127], v9 offset:28288                    // 000000013CEC: D8EC6E80 7E000009
	v_mov_b32_dpp v64, v43 row_shr:4 row_mask:0xf bank_mask:0xf// 000000013CF4: 7E8002FA FF01142B
	v_mov_b32_dpp v65, v43 row_shl:4 row_mask:0xf bank_mask:0xf// 000000013CFC: 7E8202FA FF01042B
	v_cndmask_b32_e64 v248, v43, v64, s[44:45]                 // 000000013D04: D10000F8 00B2812B
	v_cndmask_b32_e64 v249, v65, v43, s[44:45]                 // 000000013D0C: D10000F9 00B25741
	v_mov_b32_dpp v64, v248 row_shr:8 row_mask:0xf bank_mask:0xf// 000000013D14: 7E8002FA FF0118F8
	v_mov_b32_dpp v65, v248 row_shl:8 row_mask:0xf bank_mask:0xf// 000000013D1C: 7E8202FA FF0108F8
	v_mov_b32_dpp v66, v249 row_shr:8 row_mask:0xf bank_mask:0xf// 000000013D24: 7E8402FA FF0118F9
	v_mov_b32_dpp v67, v249 row_shl:8 row_mask:0xf bank_mask:0xf// 000000013D2C: 7E8602FA FF0108F9
	v_mov_b32_e32 v68, v248                                    // 000000013D34: 7E8803F8
	v_mov_b32_e32 v69, v249                                    // 000000013D38: 7E8A03F9
	v_cndmask_b32_e64 v248, v68, v64, s[42:43]                 // 000000013D3C: D10000F8 00AA8144
	v_cndmask_b32_e64 v250, v68, v65, s[78:79]                 // 000000013D44: D10000FA 013A8344
	v_cndmask_b32_e64 v249, v69, v66, s[42:43]                 // 000000013D4C: D10000F9 00AA8545
	v_cndmask_b32_e64 v251, v69, v67, s[78:79]                 // 000000013D54: D10000FB 013A8745
	v_mov_b32_dpp v64, v58 row_shr:4 row_mask:0xf bank_mask:0xf// 000000013D5C: 7E8002FA FF01143A
	v_mov_b32_dpp v65, v58 row_shl:4 row_mask:0xf bank_mask:0xf// 000000013D64: 7E8202FA FF01043A
	v_cndmask_b32_e64 v252, v58, v64, s[44:45]                 // 000000013D6C: D10000FC 00B2813A
	v_cndmask_b32_e64 v253, v65, v58, s[44:45]                 // 000000013D74: D10000FD 00B27541
	v_mov_b32_dpp v64, v252 row_shr:8 row_mask:0xf bank_mask:0xf// 000000013D7C: 7E8002FA FF0118FC
	v_mov_b32_dpp v65, v252 row_shl:8 row_mask:0xf bank_mask:0xf// 000000013D84: 7E8202FA FF0108FC
	v_mov_b32_dpp v66, v253 row_shr:8 row_mask:0xf bank_mask:0xf// 000000013D8C: 7E8402FA FF0118FD
	v_mov_b32_dpp v67, v253 row_shl:8 row_mask:0xf bank_mask:0xf// 000000013D94: 7E8602FA FF0108FD
	v_mov_b32_e32 v68, v252                                    // 000000013D9C: 7E8803FC
	v_mov_b32_e32 v69, v253                                    // 000000013DA0: 7E8A03FD
	v_cndmask_b32_e64 v252, v68, v64, s[42:43]                 // 000000013DA4: D10000FC 00AA8144
	v_cndmask_b32_e64 v254, v68, v65, s[78:79]                 // 000000013DAC: D10000FE 013A8344
	v_cndmask_b32_e64 v253, v69, v66, s[42:43]                 // 000000013DB4: D10000FD 00AA8545
	v_cndmask_b32_e64 v255, v69, v67, s[78:79]                 // 000000013DBC: D10000FF 013A8745
	v_mul_f32_e32 v128, v19, v128                              // 000000013DC4: 0B010113
	v_mul_f32_e32 v129, v19, v129                              // 000000013DC8: 0B030313
	v_mul_f32_e32 v130, v19, v130                              // 000000013DCC: 0B050513
	v_mul_f32_e32 v131, v19, v131                              // 000000013DD0: 0B070713
	v_mul_f32_e32 v132, v19, v132                              // 000000013DD4: 0B090913
	v_mul_f32_e32 v133, v19, v133                              // 000000013DD8: 0B0B0B13
	v_mul_f32_e32 v134, v19, v134                              // 000000013DDC: 0B0D0D13
	v_mul_f32_e32 v135, v19, v135                              // 000000013DE0: 0B0F0F13
	v_mul_f32_e32 v136, v19, v136                              // 000000013DE4: 0B111113
	v_mul_f32_e32 v137, v19, v137                              // 000000013DE8: 0B131313
	v_mul_f32_e32 v138, v19, v138                              // 000000013DEC: 0B151513
	v_mul_f32_e32 v139, v19, v139                              // 000000013DF0: 0B171713
	v_mul_f32_e32 v140, v19, v140                              // 000000013DF4: 0B191913
	v_mul_f32_e32 v141, v19, v141                              // 000000013DF8: 0B1B1B13
	v_mul_f32_e32 v142, v19, v142                              // 000000013DFC: 0B1D1D13
	v_mul_f32_e32 v143, v19, v143                              // 000000013E00: 0B1F1F13
	v_mul_f32_dpp v128, v248, v128 quad_perm:[0,0,0,0] row_mask:0xf bank_mask:0xf// 000000013E04: 0B0100FA FF0000F8
	v_mul_f32_dpp v129, v248, v129 quad_perm:[1,1,1,1] row_mask:0xf bank_mask:0xf// 000000013E0C: 0B0302FA FF0055F8
	v_mul_f32_dpp v130, v248, v130 quad_perm:[2,2,2,2] row_mask:0xf bank_mask:0xf// 000000013E14: 0B0504FA FF00AAF8
	v_mul_f32_dpp v131, v248, v131 quad_perm:[3,3,3,3] row_mask:0xf bank_mask:0xf// 000000013E1C: 0B0706FA FF00FFF8
	v_mul_f32_dpp v132, v249, v132 quad_perm:[0,0,0,0] row_mask:0xf bank_mask:0xf// 000000013E24: 0B0908FA FF0000F9
	v_mul_f32_dpp v133, v249, v133 quad_perm:[1,1,1,1] row_mask:0xf bank_mask:0xf// 000000013E2C: 0B0B0AFA FF0055F9
	v_mul_f32_dpp v134, v249, v134 quad_perm:[2,2,2,2] row_mask:0xf bank_mask:0xf// 000000013E34: 0B0D0CFA FF00AAF9
	v_mul_f32_dpp v135, v249, v135 quad_perm:[3,3,3,3] row_mask:0xf bank_mask:0xf// 000000013E3C: 0B0F0EFA FF00FFF9
	v_mul_f32_dpp v136, v250, v136 quad_perm:[0,0,0,0] row_mask:0xf bank_mask:0xf// 000000013E44: 0B1110FA FF0000FA
	v_mul_f32_dpp v137, v250, v137 quad_perm:[1,1,1,1] row_mask:0xf bank_mask:0xf// 000000013E4C: 0B1312FA FF0055FA
	v_mul_f32_dpp v138, v250, v138 quad_perm:[2,2,2,2] row_mask:0xf bank_mask:0xf// 000000013E54: 0B1514FA FF00AAFA
	v_mul_f32_dpp v139, v250, v139 quad_perm:[3,3,3,3] row_mask:0xf bank_mask:0xf// 000000013E5C: 0B1716FA FF00FFFA
	v_mul_f32_dpp v140, v251, v140 quad_perm:[0,0,0,0] row_mask:0xf bank_mask:0xf// 000000013E64: 0B1918FA FF0000FB
	v_mul_f32_dpp v141, v251, v141 quad_perm:[1,1,1,1] row_mask:0xf bank_mask:0xf// 000000013E6C: 0B1B1AFA FF0055FB
	v_mul_f32_dpp v142, v251, v142 quad_perm:[2,2,2,2] row_mask:0xf bank_mask:0xf// 000000013E74: 0B1D1CFA FF00AAFB
	v_mul_f32_dpp v143, v251, v143 quad_perm:[3,3,3,3] row_mask:0xf bank_mask:0xf// 000000013E7C: 0B1F1EFA FF00FFFB
	v_mov_b32_e32 v48, v128                                    // 000000013E84: 7E600380
	v_max3_f32 v48, v128, v129, v48                            // 000000013E88: D1D30030 04C30380
	v_max3_f32 v48, v130, v131, v48                            // 000000013E90: D1D30030 04C30782
	v_max3_f32 v48, v132, v133, v48                            // 000000013E98: D1D30030 04C30B84
	v_max3_f32 v48, v134, v135, v48                            // 000000013EA0: D1D30030 04C30F86
	v_max3_f32 v48, v136, v137, v48                            // 000000013EA8: D1D30030 04C31388
	v_max3_f32 v48, v138, v139, v48                            // 000000013EB0: D1D30030 04C3178A
	v_max3_f32 v48, v140, v141, v48                            // 000000013EB8: D1D30030 04C31B8C
	v_max3_f32 v48, v142, v143, v48                            // 000000013EC0: D1D30030 04C31F8E
	ds_write_b32 v8, v48 offset:16896                          // 000000013EC8: D81A4200 00003008
	v_mul_f32_e32 v216, v50, v216                              // 000000013ED0: 0BB1B132
	v_mul_f32_e32 v217, v50, v217                              // 000000013ED4: 0BB3B332
	v_mul_f32_e32 v218, v50, v218                              // 000000013ED8: 0BB5B532
	v_mul_f32_e32 v219, v50, v219                              // 000000013EDC: 0BB7B732
	v_mul_f32_e32 v220, v50, v220                              // 000000013EE0: 0BB9B932
	v_mul_f32_e32 v221, v50, v221                              // 000000013EE4: 0BBBBB32
	v_mul_f32_e32 v222, v50, v222                              // 000000013EE8: 0BBDBD32
	v_mul_f32_e32 v223, v50, v223                              // 000000013EEC: 0BBFBF32
	s_waitcnt lgkmcnt(0)                                       // 000000013EF0: BF8CC07F
	s_barrier                                                  // 000000013EF4: BF8A0000
	ds_read_b32 v64, v7 offset:16896                           // 000000013EF8: D86C4200 40000007
	ds_read_b32 v65, v7 offset:16960                           // 000000013F00: D86C4240 41000007
	ds_read_b32 v66, v7 offset:17024                           // 000000013F08: D86C4280 42000007
	ds_read_b32 v67, v7 offset:17088                           // 000000013F10: D86C42C0 43000007
	ds_read_b32 v68, v7 offset:17152                           // 000000013F18: D86C4300 44000007
	ds_read_b32 v69, v7 offset:17216                           // 000000013F20: D86C4340 45000007
	ds_read_b32 v70, v7 offset:17280                           // 000000013F28: D86C4380 46000007
	ds_read_b32 v71, v7 offset:17344                           // 000000013F30: D86C43C0 47000007
	ds_read_b32 v72, v7 offset:17408                           // 000000013F38: D86C4400 48000007
	ds_read_b32 v73, v7 offset:17472                           // 000000013F40: D86C4440 49000007
	ds_read_b32 v74, v7 offset:17536                           // 000000013F48: D86C4480 4A000007
	ds_read_b32 v75, v7 offset:17600                           // 000000013F50: D86C44C0 4B000007
	ds_read_b32 v76, v7 offset:17664                           // 000000013F58: D86C4500 4C000007
	ds_read_b32 v77, v7 offset:17728                           // 000000013F60: D86C4540 4D000007
	ds_read_b32 v78, v7 offset:17792                           // 000000013F68: D86C4580 4E000007
	ds_read_b32 v79, v7 offset:17856                           // 000000013F70: D86C45C0 4F000007
	v_mul_f32_e32 v184, v45, v184                              // 000000013F78: 0B71712D
	v_mul_f32_e32 v185, v45, v185                              // 000000013F7C: 0B73732D
	v_mul_f32_e32 v186, v45, v186                              // 000000013F80: 0B75752D
	v_mul_f32_e32 v187, v45, v187                              // 000000013F84: 0B77772D
	v_mul_f32_e32 v188, v45, v188                              // 000000013F88: 0B79792D
	v_mul_f32_e32 v189, v45, v189                              // 000000013F8C: 0B7B7B2D
	v_mul_f32_e32 v190, v45, v190                              // 000000013F90: 0B7D7D2D
	v_mul_f32_e32 v191, v45, v191                              // 000000013F94: 0B7F7F2D
	s_waitcnt lgkmcnt(0)                                       // 000000013F98: BF8CC07F
	v_max3_f32 v48, v64, v65, v48                              // 000000013F9C: D1D30030 04C28340
	v_max3_f32 v48, v66, v67, v48                              // 000000013FA4: D1D30030 04C28742
	v_max3_f32 v48, v68, v69, v48                              // 000000013FAC: D1D30030 04C28B44
	v_max3_f32 v48, v70, v71, v48                              // 000000013FB4: D1D30030 04C28F46
	v_max3_f32 v48, v72, v73, v48                              // 000000013FBC: D1D30030 04C29348
	v_max3_f32 v48, v74, v75, v48                              // 000000013FC4: D1D30030 04C2974A
	v_max3_f32 v48, v76, v77, v48                              // 000000013FCC: D1D30030 04C29B4C
	v_max3_f32 v48, v78, v79, v48                              // 000000013FD4: D1D30030 04C29F4E
	v_mov_b32_e32 v64, 0xff800000                              // 000000013FDC: 7E8002FF FF800000
	v_cmp_eq_u32_e64 s[40:41], v64, v12                        // 000000013FE4: D0CA0028 00021940
	s_nop 1                                                    // 000000013FEC: BF800001
	v_max_f32_e32 v15, v48, v12                                // 000000013FF0: 161E1930
	v_mul_f32_e32 v53, s64, v15                                // 000000013FF4: 0A6A1E40
	v_fma_f32 v128, v128, s64, -v53                            // 000000013FF8: D1CB0080 84D48180
	v_fma_f32 v129, v129, s64, -v53                            // 000000014000: D1CB0081 84D48181
	v_fma_f32 v130, v130, s64, -v53                            // 000000014008: D1CB0082 84D48182
	v_fma_f32 v131, v131, s64, -v53                            // 000000014010: D1CB0083 84D48183
	v_fma_f32 v132, v132, s64, -v53                            // 000000014018: D1CB0084 84D48184
	v_fma_f32 v133, v133, s64, -v53                            // 000000014020: D1CB0085 84D48185
	v_fma_f32 v134, v134, s64, -v53                            // 000000014028: D1CB0086 84D48186
	v_fma_f32 v135, v135, s64, -v53                            // 000000014030: D1CB0087 84D48187
	v_fma_f32 v136, v136, s64, -v53                            // 000000014038: D1CB0088 84D48188
	v_fma_f32 v137, v137, s64, -v53                            // 000000014040: D1CB0089 84D48189
	v_fma_f32 v138, v138, s64, -v53                            // 000000014048: D1CB008A 84D4818A
	v_fma_f32 v139, v139, s64, -v53                            // 000000014050: D1CB008B 84D4818B
	v_fma_f32 v140, v140, s64, -v53                            // 000000014058: D1CB008C 84D4818C
	v_fma_f32 v141, v141, s64, -v53                            // 000000014060: D1CB008D 84D4818D
	v_fma_f32 v142, v142, s64, -v53                            // 000000014068: D1CB008E 84D4818E
	v_fma_f32 v143, v143, s64, -v53                            // 000000014070: D1CB008F 84D4818F
	v_exp_f32_e32 v128, v128                                   // 000000014078: 7F004180
	v_exp_f32_e32 v129, v129                                   // 00000001407C: 7F024181
	v_exp_f32_e32 v130, v130                                   // 000000014080: 7F044182
	v_exp_f32_e32 v131, v131                                   // 000000014084: 7F064183
	v_exp_f32_e32 v132, v132                                   // 000000014088: 7F084184
	v_exp_f32_e32 v133, v133                                   // 00000001408C: 7F0A4185
	v_exp_f32_e32 v134, v134                                   // 000000014090: 7F0C4186
	v_exp_f32_e32 v135, v135                                   // 000000014094: 7F0E4187
	v_exp_f32_e32 v136, v136                                   // 000000014098: 7F104188
	v_exp_f32_e32 v137, v137                                   // 00000001409C: 7F124189
	v_exp_f32_e32 v138, v138                                   // 0000000140A0: 7F14418A
	v_exp_f32_e32 v139, v139                                   // 0000000140A4: 7F16418B
	v_exp_f32_e32 v140, v140                                   // 0000000140A8: 7F18418C
	v_exp_f32_e32 v141, v141                                   // 0000000140AC: 7F1A418D
	v_exp_f32_e32 v142, v142                                   // 0000000140B0: 7F1C418E
	v_exp_f32_e32 v143, v143                                   // 0000000140B4: 7F1E418F
	v_mul_f32_dpp v240, v252, v128 quad_perm:[0,0,0,0] row_mask:0xf bank_mask:0xf// 0000000140B8: 0BE100FA FF0000FC
	v_mul_f32_dpp v241, v252, v129 quad_perm:[1,1,1,1] row_mask:0xf bank_mask:0xf// 0000000140C0: 0BE302FA FF0055FC
	v_mul_f32_dpp v242, v252, v130 quad_perm:[2,2,2,2] row_mask:0xf bank_mask:0xf// 0000000140C8: 0BE504FA FF00AAFC
	v_mul_f32_dpp v243, v252, v131 quad_perm:[3,3,3,3] row_mask:0xf bank_mask:0xf// 0000000140D0: 0BE706FA FF00FFFC
	v_mul_f32_dpp v244, v253, v132 quad_perm:[0,0,0,0] row_mask:0xf bank_mask:0xf// 0000000140D8: 0BE908FA FF0000FD
	v_mul_f32_dpp v245, v253, v133 quad_perm:[1,1,1,1] row_mask:0xf bank_mask:0xf// 0000000140E0: 0BEB0AFA FF0055FD
	v_mul_f32_dpp v246, v253, v134 quad_perm:[2,2,2,2] row_mask:0xf bank_mask:0xf// 0000000140E8: 0BED0CFA FF00AAFD
	v_mul_f32_dpp v247, v253, v135 quad_perm:[3,3,3,3] row_mask:0xf bank_mask:0xf// 0000000140F0: 0BEF0EFA FF00FFFD
	v_mul_f32_dpp v248, v254, v136 quad_perm:[0,0,0,0] row_mask:0xf bank_mask:0xf// 0000000140F8: 0BF110FA FF0000FE
	v_mul_f32_dpp v249, v254, v137 quad_perm:[1,1,1,1] row_mask:0xf bank_mask:0xf// 000000014100: 0BF312FA FF0055FE
	v_mul_f32_dpp v250, v254, v138 quad_perm:[2,2,2,2] row_mask:0xf bank_mask:0xf// 000000014108: 0BF514FA FF00AAFE
	v_mul_f32_dpp v251, v254, v139 quad_perm:[3,3,3,3] row_mask:0xf bank_mask:0xf// 000000014110: 0BF716FA FF00FFFE
	v_mul_f32_dpp v252, v255, v140 quad_perm:[0,0,0,0] row_mask:0xf bank_mask:0xf// 000000014118: 0BF918FA FF0000FF
	v_mul_f32_dpp v253, v255, v141 quad_perm:[1,1,1,1] row_mask:0xf bank_mask:0xf// 000000014120: 0BFB1AFA FF0055FF
	v_mul_f32_dpp v254, v255, v142 quad_perm:[2,2,2,2] row_mask:0xf bank_mask:0xf// 000000014128: 0BFD1CFA FF00AAFF
	v_mul_f32_dpp v255, v255, v143 quad_perm:[3,3,3,3] row_mask:0xf bank_mask:0xf// 000000014130: 0BFF1EFA FF00FFFF
	v_mov_b32_e32 v48, 0x358637bd                              // 000000014138: 7E6002FF 358637BD
	v_max3_f32 v48, |v240|, |v241|, v48                        // 000000014140: D1D30330 04C3E3F0
	v_max3_f32 v48, |v242|, |v243|, v48                        // 000000014148: D1D30330 04C3E7F2
	v_max3_f32 v48, |v244|, |v245|, v48                        // 000000014150: D1D30330 04C3EBF4
	v_max3_f32 v48, |v246|, |v247|, v48                        // 000000014158: D1D30330 04C3EFF6
	v_max3_f32 v48, |v248|, |v249|, v48                        // 000000014160: D1D30330 04C3F3F8
	v_max3_f32 v48, |v250|, |v251|, v48                        // 000000014168: D1D30330 04C3F7FA
	v_max3_f32 v48, |v252|, |v253|, v48                        // 000000014170: D1D30330 04C3FBFC
	v_max3_f32 v48, |v254|, |v255|, v48                        // 000000014178: D1D30330 04C3FFFE
	ds_write_b32 v8, v48 offset:20992                          // 000000014180: D81A5200 00003008
	v_sub_f32_e32 v50, v12, v15                                // 000000014188: 04641F0C
	v_cndmask_b32_e64 v50, v50, 0, s[40:41]                    // 00000001418C: D1000032 00A10132
	v_mov_b32_e32 v12, v15                                     // 000000014194: 7E18030F
	v_mul_f32_e32 v50, s64, v50                                // 000000014198: 0A646440
	v_exp_f32_e32 v50, v50                                     // 00000001419C: 7E644132
	s_waitcnt lgkmcnt(0)                                       // 0000000141A0: BF8CC07F
	s_barrier                                                  // 0000000141A4: BF8A0000
	ds_read_b32 v64, v7 offset:20992                           // 0000000141A8: D86C5200 40000007
	ds_read_b32 v65, v7 offset:21056                           // 0000000141B0: D86C5240 41000007
	ds_read_b32 v66, v7 offset:21120                           // 0000000141B8: D86C5280 42000007
	ds_read_b32 v67, v7 offset:21184                           // 0000000141C0: D86C52C0 43000007
	ds_read_b32 v68, v7 offset:21248                           // 0000000141C8: D86C5300 44000007
	ds_read_b32 v69, v7 offset:21312                           // 0000000141D0: D86C5340 45000007
	ds_read_b32 v70, v7 offset:21376                           // 0000000141D8: D86C5380 46000007
	ds_read_b32 v71, v7 offset:21440                           // 0000000141E0: D86C53C0 47000007
	ds_read_b32 v72, v7 offset:21504                           // 0000000141E8: D86C5400 48000007
	ds_read_b32 v73, v7 offset:21568                           // 0000000141F0: D86C5440 49000007
	ds_read_b32 v74, v7 offset:21632                           // 0000000141F8: D86C5480 4A000007
	ds_read_b32 v75, v7 offset:21696                           // 000000014200: D86C54C0 4B000007
	ds_read_b32 v76, v7 offset:21760                           // 000000014208: D86C5500 4C000007
	ds_read_b32 v77, v7 offset:21824                           // 000000014210: D86C5540 4D000007
	ds_read_b32 v78, v7 offset:21888                           // 000000014218: D86C5580 4E000007
	ds_read_b32 v79, v7 offset:21952                           // 000000014220: D86C55C0 4F000007
	v_mul_f32_e32 v39, v50, v39                                // 000000014228: 0A4E4F32
	v_mov_b32_e32 v15, v128                                    // 00000001422C: 7E1E0380
	v_add_f32_e32 v15, v129, v15                               // 000000014230: 021E1F81
	v_add_f32_e32 v15, v130, v15                               // 000000014234: 021E1F82
	v_add_f32_e32 v15, v131, v15                               // 000000014238: 021E1F83
	v_add_f32_e32 v15, v132, v15                               // 00000001423C: 021E1F84
	v_add_f32_e32 v15, v133, v15                               // 000000014240: 021E1F85
	v_add_f32_e32 v15, v134, v15                               // 000000014244: 021E1F86
	v_add_f32_e32 v15, v135, v15                               // 000000014248: 021E1F87
	v_add_f32_e32 v15, v136, v15                               // 00000001424C: 021E1F88
	v_add_f32_e32 v15, v137, v15                               // 000000014250: 021E1F89
	v_add_f32_e32 v15, v138, v15                               // 000000014254: 021E1F8A
	v_add_f32_e32 v15, v139, v15                               // 000000014258: 021E1F8B
	v_add_f32_e32 v15, v140, v15                               // 00000001425C: 021E1F8C
	v_add_f32_e32 v15, v141, v15                               // 000000014260: 021E1F8D
	v_add_f32_e32 v15, v142, v15                               // 000000014264: 021E1F8E
	v_add_f32_e32 v15, v143, v15                               // 000000014268: 021E1F8F
	v_add_f32_e32 v39, v15, v39                                // 00000001426C: 024E4F0F
	s_waitcnt lgkmcnt(0)                                       // 000000014270: BF8CC07F
	v_max3_f32 v48, |v64|, |v65|, v48                          // 000000014274: D1D30330 04C28340
	v_max3_f32 v48, |v66|, |v67|, v48                          // 00000001427C: D1D30330 04C28742
	v_max3_f32 v48, |v68|, |v69|, v48                          // 000000014284: D1D30330 04C28B44
	v_max3_f32 v48, |v70|, |v71|, v48                          // 00000001428C: D1D30330 04C28F46
	v_max3_f32 v48, |v72|, |v73|, v48                          // 000000014294: D1D30330 04C29348
	v_max3_f32 v48, |v74|, |v75|, v48                          // 00000001429C: D1D30330 04C2974A
	v_max3_f32 v48, |v76|, |v77|, v48                          // 0000000142A4: D1D30330 04C29B4C
	v_max3_f32 v48, |v78|, |v79|, v48                          // 0000000142AC: D1D30330 04C29F4E
	s_nop 2                                                    // 0000000142B4: BF800002
	v_rcp_f32_e32 v48, v48                                     // 0000000142B8: 7E604530
	s_nop 1                                                    // 0000000142BC: BF800001
	v_mul_f32_e32 v48, 0x43e00000, v48                         // 0000000142C0: 0A6060FF 43E00000
	v_mul_f32_e32 v128, v48, v240                              // 0000000142C8: 0B01E130
	v_mul_f32_e32 v129, v48, v241                              // 0000000142CC: 0B03E330
	v_mul_f32_e32 v130, v48, v242                              // 0000000142D0: 0B05E530
	v_mul_f32_e32 v131, v48, v243                              // 0000000142D4: 0B07E730
	v_mul_f32_e32 v132, v48, v244                              // 0000000142D8: 0B09E930
	v_mul_f32_e32 v133, v48, v245                              // 0000000142DC: 0B0BEB30
	v_mul_f32_e32 v134, v48, v246                              // 0000000142E0: 0B0DED30
	v_mul_f32_e32 v135, v48, v247                              // 0000000142E4: 0B0FEF30
	v_mul_f32_e32 v136, v48, v248                              // 0000000142E8: 0B11F130
	v_mul_f32_e32 v137, v48, v249                              // 0000000142EC: 0B13F330
	v_mul_f32_e32 v138, v48, v250                              // 0000000142F0: 0B15F530
	v_mul_f32_e32 v139, v48, v251                              // 0000000142F4: 0B17F730
	v_mul_f32_e32 v140, v48, v252                              // 0000000142F8: 0B19F930
	v_mul_f32_e32 v141, v48, v253                              // 0000000142FC: 0B1BFB30
	v_mul_f32_e32 v142, v48, v254                              // 000000014300: 0B1DFD30
	v_mul_f32_e32 v143, v48, v255                              // 000000014304: 0B1FFF30
	v_cvt_pk_fp8_f32 v128, v128, v129                          // 000000014308: D2A20080 00030380
	v_cvt_pk_fp8_f32 v128, v130, v131 op_sel:[0,0,1]           // 000000014310: D2A24080 00030782
	v_cvt_pk_fp8_f32 v129, v132, v133                          // 000000014318: D2A20081 00030B84
	v_cvt_pk_fp8_f32 v129, v134, v135 op_sel:[0,0,1]           // 000000014320: D2A24081 00030F86
	v_cvt_pk_fp8_f32 v130, v136, v137                          // 000000014328: D2A20082 00031388
	v_cvt_pk_fp8_f32 v130, v138, v139 op_sel:[0,0,1]           // 000000014330: D2A24082 0003178A
	v_cvt_pk_fp8_f32 v131, v140, v141                          // 000000014338: D2A20083 00031B8C
	v_cvt_pk_fp8_f32 v131, v142, v143 op_sel:[0,0,1]           // 000000014340: D2A24083 00031F8E
	ds_write_b32 v10, v128 offset:29184                        // 000000014348: D81A7200 0000800A
	ds_write_b32 v10, v129 offset:30208                        // 000000014350: D81A7600 0000810A
	ds_write_b32 v10, v130 offset:31232                        // 000000014358: D81A7A00 0000820A
	ds_write_b32 v10, v131 offset:32256                        // 000000014360: D81A7E00 0000830A
	v_add_f32_e32 v216, v216, v184                             // 000000014368: 03B171D8
	v_add_f32_e32 v217, v217, v185                             // 00000001436C: 03B373D9
	v_add_f32_e32 v218, v218, v186                             // 000000014370: 03B575DA
	v_add_f32_e32 v219, v219, v187                             // 000000014374: 03B777DB
	v_add_f32_e32 v220, v220, v188                             // 000000014378: 03B979DC
	v_add_f32_e32 v221, v221, v189                             // 00000001437C: 03BB7BDD
	v_add_f32_e32 v222, v222, v190                             // 000000014380: 03BD7DDE
	v_add_f32_e32 v223, v223, v191                             // 000000014384: 03BF7FDF
	v_rcp_f32_e32 v45, v48                                     // 000000014388: 7E5A4530
	s_waitcnt lgkmcnt(0)                                       // 00000001438C: BF8CC07F
	s_barrier                                                  // 000000014390: BF8A0000
	ds_read_b64 v[128:129], v9 offset:29184                    // 000000014394: D8EC7200 80000009
	ds_read_b64 v[130:131], v9 offset:29312                    // 00000001439C: D8EC7280 82000009
	ds_read_b64 v[132:133], v9 offset:30208                    // 0000000143A4: D8EC7600 84000009
	ds_read_b64 v[134:135], v9 offset:30336                    // 0000000143AC: D8EC7680 86000009
	ds_read_b64 v[136:137], v9 offset:31232                    // 0000000143B4: D8EC7A00 88000009
	ds_read_b64 v[138:139], v9 offset:31360                    // 0000000143BC: D8EC7A80 8A000009
	ds_read_b64 v[140:141], v9 offset:32256                    // 0000000143C4: D8EC7E00 8C000009
	ds_read_b64 v[142:143], v9 offset:32384                    // 0000000143CC: D8EC7E80 8E000009
	v_mov_b32_dpp v64, v43 row_shr:4 row_mask:0xf bank_mask:0xf// 0000000143D4: 7E8002FA FF01142B
	v_mov_b32_dpp v65, v43 row_shl:4 row_mask:0xf bank_mask:0xf// 0000000143DC: 7E8202FA FF01042B
	v_cndmask_b32_e64 v248, v43, v64, s[44:45]                 // 0000000143E4: D10000F8 00B2812B
	v_cndmask_b32_e64 v249, v65, v43, s[44:45]                 // 0000000143EC: D10000F9 00B25741
	v_mov_b32_dpp v64, v248 row_shr:8 row_mask:0xf bank_mask:0xf// 0000000143F4: 7E8002FA FF0118F8
	v_mov_b32_dpp v65, v248 row_shl:8 row_mask:0xf bank_mask:0xf// 0000000143FC: 7E8202FA FF0108F8
	v_mov_b32_dpp v66, v249 row_shr:8 row_mask:0xf bank_mask:0xf// 000000014404: 7E8402FA FF0118F9
	v_mov_b32_dpp v67, v249 row_shl:8 row_mask:0xf bank_mask:0xf// 00000001440C: 7E8602FA FF0108F9
	v_mov_b32_e32 v68, v248                                    // 000000014414: 7E8803F8
	v_mov_b32_e32 v69, v249                                    // 000000014418: 7E8A03F9
	v_cndmask_b32_e64 v248, v68, v64, s[42:43]                 // 00000001441C: D10000F8 00AA8144
	v_cndmask_b32_e64 v250, v68, v65, s[78:79]                 // 000000014424: D10000FA 013A8344
	v_cndmask_b32_e64 v249, v69, v66, s[42:43]                 // 00000001442C: D10000F9 00AA8545
	v_cndmask_b32_e64 v251, v69, v67, s[78:79]                 // 000000014434: D10000FB 013A8745
	v_mov_b32_dpp v64, v58 row_shr:4 row_mask:0xf bank_mask:0xf// 00000001443C: 7E8002FA FF01143A
	v_mov_b32_dpp v65, v58 row_shl:4 row_mask:0xf bank_mask:0xf// 000000014444: 7E8202FA FF01043A
	v_cndmask_b32_e64 v252, v58, v64, s[44:45]                 // 00000001444C: D10000FC 00B2813A
	v_cndmask_b32_e64 v253, v65, v58, s[44:45]                 // 000000014454: D10000FD 00B27541
	v_mov_b32_dpp v64, v252 row_shr:8 row_mask:0xf bank_mask:0xf// 00000001445C: 7E8002FA FF0118FC
	v_mov_b32_dpp v65, v252 row_shl:8 row_mask:0xf bank_mask:0xf// 000000014464: 7E8202FA FF0108FC
	v_mov_b32_dpp v66, v253 row_shr:8 row_mask:0xf bank_mask:0xf// 00000001446C: 7E8402FA FF0118FD
	v_mov_b32_dpp v67, v253 row_shl:8 row_mask:0xf bank_mask:0xf// 000000014474: 7E8602FA FF0108FD
	v_mov_b32_e32 v68, v252                                    // 00000001447C: 7E8803FC
	v_mov_b32_e32 v69, v253                                    // 000000014480: 7E8A03FD
	v_cndmask_b32_e64 v252, v68, v64, s[42:43]                 // 000000014484: D10000FC 00AA8144
	v_cndmask_b32_e64 v254, v68, v65, s[78:79]                 // 00000001448C: D10000FE 013A8344
	v_cndmask_b32_e64 v253, v69, v66, s[42:43]                 // 000000014494: D10000FD 00AA8545
	v_cndmask_b32_e64 v255, v69, v67, s[78:79]                 // 00000001449C: D10000FF 013A8745
	v_mul_f32_e32 v144, v20, v144                              // 0000000144A4: 0B212114
	v_mul_f32_e32 v145, v20, v145                              // 0000000144A8: 0B232314
	v_mul_f32_e32 v146, v20, v146                              // 0000000144AC: 0B252514
	v_mul_f32_e32 v147, v20, v147                              // 0000000144B0: 0B272714
	v_mul_f32_e32 v148, v20, v148                              // 0000000144B4: 0B292914
	v_mul_f32_e32 v149, v20, v149                              // 0000000144B8: 0B2B2B14
	v_mul_f32_e32 v150, v20, v150                              // 0000000144BC: 0B2D2D14
	v_mul_f32_e32 v151, v20, v151                              // 0000000144C0: 0B2F2F14
	v_mul_f32_e32 v152, v20, v152                              // 0000000144C4: 0B313114
	v_mul_f32_e32 v153, v20, v153                              // 0000000144C8: 0B333314
	v_mul_f32_e32 v154, v20, v154                              // 0000000144CC: 0B353514
	v_mul_f32_e32 v155, v20, v155                              // 0000000144D0: 0B373714
	v_mul_f32_e32 v156, v20, v156                              // 0000000144D4: 0B393914
	v_mul_f32_e32 v157, v20, v157                              // 0000000144D8: 0B3B3B14
	v_mul_f32_e32 v158, v20, v158                              // 0000000144DC: 0B3D3D14
	v_mul_f32_e32 v159, v20, v159                              // 0000000144E0: 0B3F3F14
	v_mul_f32_dpp v144, v248, v144 quad_perm:[0,0,0,0] row_mask:0xf bank_mask:0xf// 0000000144E4: 0B2120FA FF0000F8
	v_mul_f32_dpp v145, v248, v145 quad_perm:[1,1,1,1] row_mask:0xf bank_mask:0xf// 0000000144EC: 0B2322FA FF0055F8
	v_mul_f32_dpp v146, v248, v146 quad_perm:[2,2,2,2] row_mask:0xf bank_mask:0xf// 0000000144F4: 0B2524FA FF00AAF8
	v_mul_f32_dpp v147, v248, v147 quad_perm:[3,3,3,3] row_mask:0xf bank_mask:0xf// 0000000144FC: 0B2726FA FF00FFF8
	v_mul_f32_dpp v148, v249, v148 quad_perm:[0,0,0,0] row_mask:0xf bank_mask:0xf// 000000014504: 0B2928FA FF0000F9
	v_mul_f32_dpp v149, v249, v149 quad_perm:[1,1,1,1] row_mask:0xf bank_mask:0xf// 00000001450C: 0B2B2AFA FF0055F9
	v_mul_f32_dpp v150, v249, v150 quad_perm:[2,2,2,2] row_mask:0xf bank_mask:0xf// 000000014514: 0B2D2CFA FF00AAF9
	v_mul_f32_dpp v151, v249, v151 quad_perm:[3,3,3,3] row_mask:0xf bank_mask:0xf// 00000001451C: 0B2F2EFA FF00FFF9
	v_mul_f32_dpp v152, v250, v152 quad_perm:[0,0,0,0] row_mask:0xf bank_mask:0xf// 000000014524: 0B3130FA FF0000FA
	v_mul_f32_dpp v153, v250, v153 quad_perm:[1,1,1,1] row_mask:0xf bank_mask:0xf// 00000001452C: 0B3332FA FF0055FA
	v_mul_f32_dpp v154, v250, v154 quad_perm:[2,2,2,2] row_mask:0xf bank_mask:0xf// 000000014534: 0B3534FA FF00AAFA
	v_mul_f32_dpp v155, v250, v155 quad_perm:[3,3,3,3] row_mask:0xf bank_mask:0xf// 00000001453C: 0B3736FA FF00FFFA
	v_mul_f32_dpp v156, v251, v156 quad_perm:[0,0,0,0] row_mask:0xf bank_mask:0xf// 000000014544: 0B3938FA FF0000FB
	v_mul_f32_dpp v157, v251, v157 quad_perm:[1,1,1,1] row_mask:0xf bank_mask:0xf// 00000001454C: 0B3B3AFA FF0055FB
	v_mul_f32_dpp v158, v251, v158 quad_perm:[2,2,2,2] row_mask:0xf bank_mask:0xf// 000000014554: 0B3D3CFA FF00AAFB
	v_mul_f32_dpp v159, v251, v159 quad_perm:[3,3,3,3] row_mask:0xf bank_mask:0xf// 00000001455C: 0B3F3EFA FF00FFFB
	v_mov_b32_e32 v48, v144                                    // 000000014564: 7E600390
	v_max3_f32 v48, v144, v145, v48                            // 000000014568: D1D30030 04C32390
	v_max3_f32 v48, v146, v147, v48                            // 000000014570: D1D30030 04C32792
	v_max3_f32 v48, v148, v149, v48                            // 000000014578: D1D30030 04C32B94
	v_max3_f32 v48, v150, v151, v48                            // 000000014580: D1D30030 04C32F96
	v_max3_f32 v48, v152, v153, v48                            // 000000014588: D1D30030 04C33398
	v_max3_f32 v48, v154, v155, v48                            // 000000014590: D1D30030 04C3379A
	v_max3_f32 v48, v156, v157, v48                            // 000000014598: D1D30030 04C33B9C
	v_max3_f32 v48, v158, v159, v48                            // 0000000145A0: D1D30030 04C33F9E
	ds_write_b32 v8, v48 offset:16896                          // 0000000145A8: D81A4200 00003008
	v_mul_f32_e32 v224, v51, v224                              // 0000000145B0: 0BC1C133
	v_mul_f32_e32 v225, v51, v225                              // 0000000145B4: 0BC3C333
	v_mul_f32_e32 v226, v51, v226                              // 0000000145B8: 0BC5C533
	v_mul_f32_e32 v227, v51, v227                              // 0000000145BC: 0BC7C733
	v_mul_f32_e32 v228, v51, v228                              // 0000000145C0: 0BC9C933
	v_mul_f32_e32 v229, v51, v229                              // 0000000145C4: 0BCBCB33
	v_mul_f32_e32 v230, v51, v230                              // 0000000145C8: 0BCDCD33
	v_mul_f32_e32 v231, v51, v231                              // 0000000145CC: 0BCFCF33
	s_waitcnt lgkmcnt(0)                                       // 0000000145D0: BF8CC07F
	s_barrier                                                  // 0000000145D4: BF8A0000
	ds_read_b32 v64, v7 offset:16896                           // 0000000145D8: D86C4200 40000007
	ds_read_b32 v65, v7 offset:16960                           // 0000000145E0: D86C4240 41000007
	ds_read_b32 v66, v7 offset:17024                           // 0000000145E8: D86C4280 42000007
	ds_read_b32 v67, v7 offset:17088                           // 0000000145F0: D86C42C0 43000007
	ds_read_b32 v68, v7 offset:17152                           // 0000000145F8: D86C4300 44000007
	ds_read_b32 v69, v7 offset:17216                           // 000000014600: D86C4340 45000007
	ds_read_b32 v70, v7 offset:17280                           // 000000014608: D86C4380 46000007
	ds_read_b32 v71, v7 offset:17344                           // 000000014610: D86C43C0 47000007
	ds_read_b32 v72, v7 offset:17408                           // 000000014618: D86C4400 48000007
	ds_read_b32 v73, v7 offset:17472                           // 000000014620: D86C4440 49000007
	ds_read_b32 v74, v7 offset:17536                           // 000000014628: D86C4480 4A000007
	ds_read_b32 v75, v7 offset:17600                           // 000000014630: D86C44C0 4B000007
	ds_read_b32 v76, v7 offset:17664                           // 000000014638: D86C4500 4C000007
	ds_read_b32 v77, v7 offset:17728                           // 000000014640: D86C4540 4D000007
	ds_read_b32 v78, v7 offset:17792                           // 000000014648: D86C4580 4E000007
	ds_read_b32 v79, v7 offset:17856                           // 000000014650: D86C45C0 4F000007
	v_mul_f32_e32 v192, v46, v192                              // 000000014658: 0B81812E
	v_mul_f32_e32 v193, v46, v193                              // 00000001465C: 0B83832E
	v_mul_f32_e32 v194, v46, v194                              // 000000014660: 0B85852E
	v_mul_f32_e32 v195, v46, v195                              // 000000014664: 0B87872E
	v_mul_f32_e32 v196, v46, v196                              // 000000014668: 0B89892E
	v_mul_f32_e32 v197, v46, v197                              // 00000001466C: 0B8B8B2E
	v_mul_f32_e32 v198, v46, v198                              // 000000014670: 0B8D8D2E
	v_mul_f32_e32 v199, v46, v199                              // 000000014674: 0B8F8F2E
	s_waitcnt lgkmcnt(0)                                       // 000000014678: BF8CC07F
	v_max3_f32 v48, v64, v65, v48                              // 00000001467C: D1D30030 04C28340
	v_max3_f32 v48, v66, v67, v48                              // 000000014684: D1D30030 04C28742
	v_max3_f32 v48, v68, v69, v48                              // 00000001468C: D1D30030 04C28B44
	v_max3_f32 v48, v70, v71, v48                              // 000000014694: D1D30030 04C28F46
	v_max3_f32 v48, v72, v73, v48                              // 00000001469C: D1D30030 04C29348
	v_max3_f32 v48, v74, v75, v48                              // 0000000146A4: D1D30030 04C2974A
	v_max3_f32 v48, v76, v77, v48                              // 0000000146AC: D1D30030 04C29B4C
	v_max3_f32 v48, v78, v79, v48                              // 0000000146B4: D1D30030 04C29F4E
	v_mov_b32_e32 v64, 0xff800000                              // 0000000146BC: 7E8002FF FF800000
	v_cmp_eq_u32_e64 s[40:41], v64, v13                        // 0000000146C4: D0CA0028 00021B40
	s_nop 1                                                    // 0000000146CC: BF800001
	v_max_f32_e32 v15, v48, v13                                // 0000000146D0: 161E1B30
	v_mul_f32_e32 v53, s64, v15                                // 0000000146D4: 0A6A1E40
	v_fma_f32 v144, v144, s64, -v53                            // 0000000146D8: D1CB0090 84D48190
	v_fma_f32 v145, v145, s64, -v53                            // 0000000146E0: D1CB0091 84D48191
	v_fma_f32 v146, v146, s64, -v53                            // 0000000146E8: D1CB0092 84D48192
	v_fma_f32 v147, v147, s64, -v53                            // 0000000146F0: D1CB0093 84D48193
	v_fma_f32 v148, v148, s64, -v53                            // 0000000146F8: D1CB0094 84D48194
	v_fma_f32 v149, v149, s64, -v53                            // 000000014700: D1CB0095 84D48195
	v_fma_f32 v150, v150, s64, -v53                            // 000000014708: D1CB0096 84D48196
	v_fma_f32 v151, v151, s64, -v53                            // 000000014710: D1CB0097 84D48197
	v_fma_f32 v152, v152, s64, -v53                            // 000000014718: D1CB0098 84D48198
	v_fma_f32 v153, v153, s64, -v53                            // 000000014720: D1CB0099 84D48199
	v_fma_f32 v154, v154, s64, -v53                            // 000000014728: D1CB009A 84D4819A
	v_fma_f32 v155, v155, s64, -v53                            // 000000014730: D1CB009B 84D4819B
	v_fma_f32 v156, v156, s64, -v53                            // 000000014738: D1CB009C 84D4819C
	v_fma_f32 v157, v157, s64, -v53                            // 000000014740: D1CB009D 84D4819D
	v_fma_f32 v158, v158, s64, -v53                            // 000000014748: D1CB009E 84D4819E
	v_fma_f32 v159, v159, s64, -v53                            // 000000014750: D1CB009F 84D4819F
	v_exp_f32_e32 v144, v144                                   // 000000014758: 7F204190
	v_exp_f32_e32 v145, v145                                   // 00000001475C: 7F224191
	v_exp_f32_e32 v146, v146                                   // 000000014760: 7F244192
	v_exp_f32_e32 v147, v147                                   // 000000014764: 7F264193
	v_exp_f32_e32 v148, v148                                   // 000000014768: 7F284194
	v_exp_f32_e32 v149, v149                                   // 00000001476C: 7F2A4195
	v_exp_f32_e32 v150, v150                                   // 000000014770: 7F2C4196
	v_exp_f32_e32 v151, v151                                   // 000000014774: 7F2E4197
	v_exp_f32_e32 v152, v152                                   // 000000014778: 7F304198
	v_exp_f32_e32 v153, v153                                   // 00000001477C: 7F324199
	v_exp_f32_e32 v154, v154                                   // 000000014780: 7F34419A
	v_exp_f32_e32 v155, v155                                   // 000000014784: 7F36419B
	v_exp_f32_e32 v156, v156                                   // 000000014788: 7F38419C
	v_exp_f32_e32 v157, v157                                   // 00000001478C: 7F3A419D
	v_exp_f32_e32 v158, v158                                   // 000000014790: 7F3C419E
	v_exp_f32_e32 v159, v159                                   // 000000014794: 7F3E419F
	v_mul_f32_dpp v240, v252, v144 quad_perm:[0,0,0,0] row_mask:0xf bank_mask:0xf// 000000014798: 0BE120FA FF0000FC
	v_mul_f32_dpp v241, v252, v145 quad_perm:[1,1,1,1] row_mask:0xf bank_mask:0xf// 0000000147A0: 0BE322FA FF0055FC
	v_mul_f32_dpp v242, v252, v146 quad_perm:[2,2,2,2] row_mask:0xf bank_mask:0xf// 0000000147A8: 0BE524FA FF00AAFC
	v_mul_f32_dpp v243, v252, v147 quad_perm:[3,3,3,3] row_mask:0xf bank_mask:0xf// 0000000147B0: 0BE726FA FF00FFFC
	v_mul_f32_dpp v244, v253, v148 quad_perm:[0,0,0,0] row_mask:0xf bank_mask:0xf// 0000000147B8: 0BE928FA FF0000FD
	v_mul_f32_dpp v245, v253, v149 quad_perm:[1,1,1,1] row_mask:0xf bank_mask:0xf// 0000000147C0: 0BEB2AFA FF0055FD
	v_mul_f32_dpp v246, v253, v150 quad_perm:[2,2,2,2] row_mask:0xf bank_mask:0xf// 0000000147C8: 0BED2CFA FF00AAFD
	v_mul_f32_dpp v247, v253, v151 quad_perm:[3,3,3,3] row_mask:0xf bank_mask:0xf// 0000000147D0: 0BEF2EFA FF00FFFD
	v_mul_f32_dpp v248, v254, v152 quad_perm:[0,0,0,0] row_mask:0xf bank_mask:0xf// 0000000147D8: 0BF130FA FF0000FE
	v_mul_f32_dpp v249, v254, v153 quad_perm:[1,1,1,1] row_mask:0xf bank_mask:0xf// 0000000147E0: 0BF332FA FF0055FE
	v_mul_f32_dpp v250, v254, v154 quad_perm:[2,2,2,2] row_mask:0xf bank_mask:0xf// 0000000147E8: 0BF534FA FF00AAFE
	v_mul_f32_dpp v251, v254, v155 quad_perm:[3,3,3,3] row_mask:0xf bank_mask:0xf// 0000000147F0: 0BF736FA FF00FFFE
	v_mul_f32_dpp v252, v255, v156 quad_perm:[0,0,0,0] row_mask:0xf bank_mask:0xf// 0000000147F8: 0BF938FA FF0000FF
	v_mul_f32_dpp v253, v255, v157 quad_perm:[1,1,1,1] row_mask:0xf bank_mask:0xf// 000000014800: 0BFB3AFA FF0055FF
	v_mul_f32_dpp v254, v255, v158 quad_perm:[2,2,2,2] row_mask:0xf bank_mask:0xf// 000000014808: 0BFD3CFA FF00AAFF
	v_mul_f32_dpp v255, v255, v159 quad_perm:[3,3,3,3] row_mask:0xf bank_mask:0xf// 000000014810: 0BFF3EFA FF00FFFF
	v_mov_b32_e32 v48, 0x358637bd                              // 000000014818: 7E6002FF 358637BD
	v_max3_f32 v48, |v240|, |v241|, v48                        // 000000014820: D1D30330 04C3E3F0
	v_max3_f32 v48, |v242|, |v243|, v48                        // 000000014828: D1D30330 04C3E7F2
	v_max3_f32 v48, |v244|, |v245|, v48                        // 000000014830: D1D30330 04C3EBF4
	v_max3_f32 v48, |v246|, |v247|, v48                        // 000000014838: D1D30330 04C3EFF6
	v_max3_f32 v48, |v248|, |v249|, v48                        // 000000014840: D1D30330 04C3F3F8
	v_max3_f32 v48, |v250|, |v251|, v48                        // 000000014848: D1D30330 04C3F7FA
	v_max3_f32 v48, |v252|, |v253|, v48                        // 000000014850: D1D30330 04C3FBFC
	v_max3_f32 v48, |v254|, |v255|, v48                        // 000000014858: D1D30330 04C3FFFE
	ds_write_b32 v8, v48 offset:20992                          // 000000014860: D81A5200 00003008
	v_sub_f32_e32 v51, v13, v15                                // 000000014868: 04661F0D
	v_cndmask_b32_e64 v51, v51, 0, s[40:41]                    // 00000001486C: D1000033 00A10133
	v_mov_b32_e32 v13, v15                                     // 000000014874: 7E1A030F
	v_mul_f32_e32 v51, s64, v51                                // 000000014878: 0A666640
	v_exp_f32_e32 v51, v51                                     // 00000001487C: 7E664133
	s_waitcnt lgkmcnt(0)                                       // 000000014880: BF8CC07F
	s_barrier                                                  // 000000014884: BF8A0000
	ds_read_b32 v64, v7 offset:20992                           // 000000014888: D86C5200 40000007
	ds_read_b32 v65, v7 offset:21056                           // 000000014890: D86C5240 41000007
	ds_read_b32 v66, v7 offset:21120                           // 000000014898: D86C5280 42000007
	ds_read_b32 v67, v7 offset:21184                           // 0000000148A0: D86C52C0 43000007
	ds_read_b32 v68, v7 offset:21248                           // 0000000148A8: D86C5300 44000007
	ds_read_b32 v69, v7 offset:21312                           // 0000000148B0: D86C5340 45000007
	ds_read_b32 v70, v7 offset:21376                           // 0000000148B8: D86C5380 46000007
	ds_read_b32 v71, v7 offset:21440                           // 0000000148C0: D86C53C0 47000007
	ds_read_b32 v72, v7 offset:21504                           // 0000000148C8: D86C5400 48000007
	ds_read_b32 v73, v7 offset:21568                           // 0000000148D0: D86C5440 49000007
	ds_read_b32 v74, v7 offset:21632                           // 0000000148D8: D86C5480 4A000007
	ds_read_b32 v75, v7 offset:21696                           // 0000000148E0: D86C54C0 4B000007
	ds_read_b32 v76, v7 offset:21760                           // 0000000148E8: D86C5500 4C000007
	ds_read_b32 v77, v7 offset:21824                           // 0000000148F0: D86C5540 4D000007
	ds_read_b32 v78, v7 offset:21888                           // 0000000148F8: D86C5580 4E000007
	ds_read_b32 v79, v7 offset:21952                           // 000000014900: D86C55C0 4F000007
	v_mul_f32_e32 v40, v51, v40                                // 000000014908: 0A505133
	v_mov_b32_e32 v15, v144                                    // 00000001490C: 7E1E0390
	v_add_f32_e32 v15, v145, v15                               // 000000014910: 021E1F91
	v_add_f32_e32 v15, v146, v15                               // 000000014914: 021E1F92
	v_add_f32_e32 v15, v147, v15                               // 000000014918: 021E1F93
	v_add_f32_e32 v15, v148, v15                               // 00000001491C: 021E1F94
	v_add_f32_e32 v15, v149, v15                               // 000000014920: 021E1F95
	v_add_f32_e32 v15, v150, v15                               // 000000014924: 021E1F96
	v_add_f32_e32 v15, v151, v15                               // 000000014928: 021E1F97
	v_add_f32_e32 v15, v152, v15                               // 00000001492C: 021E1F98
	v_add_f32_e32 v15, v153, v15                               // 000000014930: 021E1F99
	v_add_f32_e32 v15, v154, v15                               // 000000014934: 021E1F9A
	v_add_f32_e32 v15, v155, v15                               // 000000014938: 021E1F9B
	v_add_f32_e32 v15, v156, v15                               // 00000001493C: 021E1F9C
	v_add_f32_e32 v15, v157, v15                               // 000000014940: 021E1F9D
	v_add_f32_e32 v15, v158, v15                               // 000000014944: 021E1F9E
	v_add_f32_e32 v15, v159, v15                               // 000000014948: 021E1F9F
	v_add_f32_e32 v40, v15, v40                                // 00000001494C: 0250510F
	s_waitcnt lgkmcnt(0)                                       // 000000014950: BF8CC07F
	v_max3_f32 v48, |v64|, |v65|, v48                          // 000000014954: D1D30330 04C28340
	v_max3_f32 v48, |v66|, |v67|, v48                          // 00000001495C: D1D30330 04C28742
	v_max3_f32 v48, |v68|, |v69|, v48                          // 000000014964: D1D30330 04C28B44
	v_max3_f32 v48, |v70|, |v71|, v48                          // 00000001496C: D1D30330 04C28F46
	v_max3_f32 v48, |v72|, |v73|, v48                          // 000000014974: D1D30330 04C29348
	v_max3_f32 v48, |v74|, |v75|, v48                          // 00000001497C: D1D30330 04C2974A
	v_max3_f32 v48, |v76|, |v77|, v48                          // 000000014984: D1D30330 04C29B4C
	v_max3_f32 v48, |v78|, |v79|, v48                          // 00000001498C: D1D30330 04C29F4E
	s_nop 2                                                    // 000000014994: BF800002
	v_rcp_f32_e32 v48, v48                                     // 000000014998: 7E604530
	s_nop 1                                                    // 00000001499C: BF800001
	v_mul_f32_e32 v48, 0x43e00000, v48                         // 0000000149A0: 0A6060FF 43E00000
	v_mul_f32_e32 v144, v48, v240                              // 0000000149A8: 0B21E130
	v_mul_f32_e32 v145, v48, v241                              // 0000000149AC: 0B23E330
	v_mul_f32_e32 v146, v48, v242                              // 0000000149B0: 0B25E530
	v_mul_f32_e32 v147, v48, v243                              // 0000000149B4: 0B27E730
	v_mul_f32_e32 v148, v48, v244                              // 0000000149B8: 0B29E930
	v_mul_f32_e32 v149, v48, v245                              // 0000000149BC: 0B2BEB30
	v_mul_f32_e32 v150, v48, v246                              // 0000000149C0: 0B2DED30
	v_mul_f32_e32 v151, v48, v247                              // 0000000149C4: 0B2FEF30
	v_mul_f32_e32 v152, v48, v248                              // 0000000149C8: 0B31F130
	v_mul_f32_e32 v153, v48, v249                              // 0000000149CC: 0B33F330
	v_mul_f32_e32 v154, v48, v250                              // 0000000149D0: 0B35F530
	v_mul_f32_e32 v155, v48, v251                              // 0000000149D4: 0B37F730
	v_mul_f32_e32 v156, v48, v252                              // 0000000149D8: 0B39F930
	v_mul_f32_e32 v157, v48, v253                              // 0000000149DC: 0B3BFB30
	v_mul_f32_e32 v158, v48, v254                              // 0000000149E0: 0B3DFD30
	v_mul_f32_e32 v159, v48, v255                              // 0000000149E4: 0B3FFF30
	v_cvt_pk_fp8_f32 v144, v144, v145                          // 0000000149E8: D2A20090 00032390
	v_cvt_pk_fp8_f32 v144, v146, v147 op_sel:[0,0,1]           // 0000000149F0: D2A24090 00032792
	v_cvt_pk_fp8_f32 v145, v148, v149                          // 0000000149F8: D2A20091 00032B94
	v_cvt_pk_fp8_f32 v145, v150, v151 op_sel:[0,0,1]           // 000000014A00: D2A24091 00032F96
	v_cvt_pk_fp8_f32 v146, v152, v153                          // 000000014A08: D2A20092 00033398
	v_cvt_pk_fp8_f32 v146, v154, v155 op_sel:[0,0,1]           // 000000014A10: D2A24092 0003379A
	v_cvt_pk_fp8_f32 v147, v156, v157                          // 000000014A18: D2A20093 00033B9C
	v_cvt_pk_fp8_f32 v147, v158, v159 op_sel:[0,0,1]           // 000000014A20: D2A24093 00033F9E
	ds_write_b32 v10, v144 offset:33280                        // 000000014A28: D81A8200 0000900A
	ds_write_b32 v10, v145 offset:34304                        // 000000014A30: D81A8600 0000910A
	ds_write_b32 v10, v146 offset:35328                        // 000000014A38: D81A8A00 0000920A
	ds_write_b32 v10, v147 offset:36352                        // 000000014A40: D81A8E00 0000930A
	v_add_f32_e32 v224, v224, v192                             // 000000014A48: 03C181E0
	v_add_f32_e32 v225, v225, v193                             // 000000014A4C: 03C383E1
	v_add_f32_e32 v226, v226, v194                             // 000000014A50: 03C585E2
	v_add_f32_e32 v227, v227, v195                             // 000000014A54: 03C787E3
	v_add_f32_e32 v228, v228, v196                             // 000000014A58: 03C989E4
	v_add_f32_e32 v229, v229, v197                             // 000000014A5C: 03CB8BE5
	v_add_f32_e32 v230, v230, v198                             // 000000014A60: 03CD8DE6
	v_add_f32_e32 v231, v231, v199                             // 000000014A64: 03CF8FE7
	v_rcp_f32_e32 v46, v48                                     // 000000014A68: 7E5C4530
	s_waitcnt lgkmcnt(0)                                       // 000000014A6C: BF8CC07F
	s_barrier                                                  // 000000014A70: BF8A0000
	ds_read_b64 v[144:145], v9 offset:33280                    // 000000014A74: D8EC8200 90000009
	ds_read_b64 v[146:147], v9 offset:33408                    // 000000014A7C: D8EC8280 92000009
	ds_read_b64 v[148:149], v9 offset:34304                    // 000000014A84: D8EC8600 94000009
	ds_read_b64 v[150:151], v9 offset:34432                    // 000000014A8C: D8EC8680 96000009
	ds_read_b64 v[152:153], v9 offset:35328                    // 000000014A94: D8EC8A00 98000009
	ds_read_b64 v[154:155], v9 offset:35456                    // 000000014A9C: D8EC8A80 9A000009
	ds_read_b64 v[156:157], v9 offset:36352                    // 000000014AA4: D8EC8E00 9C000009
	ds_read_b64 v[158:159], v9 offset:36480                    // 000000014AAC: D8EC8E80 9E000009
	s_waitcnt vmcnt(15)                                        // 000000014AB4: BF8C0F7F
	v_mfma_f32_16x16x32_fp8_fp8 v[176:179], a[96:97], v[112:113], 0// 000000014AB8: D3F300B0 0A02E160
	buffer_load_dwordx4 a[80:83], v30, s[20:23], 0 offen offset:1024// 000000014AC0: E05C1400 8085501E
	v_mfma_f32_16x16x32_fp8_fp8 v[176:179], a[98:99], v[114:115], v[176:179]// 000000014AC8: D3F300B0 0EC2E562
	v_mfma_f32_16x16x32_fp8_fp8 v[176:179], a[100:101], v[116:117], v[176:179]// 000000014AD0: D3F300B0 0EC2E964
	v_mfma_f32_16x16x32_fp8_fp8 v[176:179], a[102:103], v[118:119], v[176:179]// 000000014AD8: D3F300B0 0EC2ED66
	v_mfma_f32_16x16x32_fp8_fp8 v[176:179], a[104:105], v[120:121], v[176:179]// 000000014AE0: D3F300B0 0EC2F168
	buffer_load_dwordx4 a[84:87], v31, s[20:23], 0 offen offset:1024// 000000014AE8: E05C1400 8085541F
	v_mfma_f32_16x16x32_fp8_fp8 v[176:179], a[106:107], v[122:123], v[176:179]// 000000014AF0: D3F300B0 0EC2F56A
	v_mfma_f32_16x16x32_fp8_fp8 v[176:179], a[108:109], v[124:125], v[176:179]// 000000014AF8: D3F300B0 0EC2F96C
	v_mfma_f32_16x16x32_fp8_fp8 v[176:179], a[110:111], v[126:127], v[176:179]// 000000014B00: D3F300B0 0EC2FD6E
	v_mfma_f32_16x16x32_fp8_fp8 v[180:183], a[112:113], v[112:113], 0// 000000014B08: D3F300B4 0A02E170
	buffer_load_dwordx4 a[88:91], v32, s[20:23], 0 offen offset:1024// 000000014B10: E05C1400 80855820
	v_mfma_f32_16x16x32_fp8_fp8 v[180:183], a[114:115], v[114:115], v[180:183]// 000000014B18: D3F300B4 0ED2E572
	v_mfma_f32_16x16x32_fp8_fp8 v[180:183], a[116:117], v[116:117], v[180:183]// 000000014B20: D3F300B4 0ED2E974
	v_mfma_f32_16x16x32_fp8_fp8 v[180:183], a[118:119], v[118:119], v[180:183]// 000000014B28: D3F300B4 0ED2ED76
	v_mfma_f32_16x16x32_fp8_fp8 v[180:183], a[120:121], v[120:121], v[180:183]// 000000014B30: D3F300B4 0ED2F178
	buffer_load_dwordx4 a[92:95], v33, s[20:23], 0 offen offset:1024// 000000014B38: E05C1400 80855C21
	v_mfma_f32_16x16x32_fp8_fp8 v[180:183], a[122:123], v[122:123], v[180:183]// 000000014B40: D3F300B4 0ED2F57A
	v_mfma_f32_16x16x32_fp8_fp8 v[180:183], a[124:125], v[124:125], v[180:183]// 000000014B48: D3F300B4 0ED2F97C
	s_lshr_b32 s57, s70, 4                                     // 000000014B50: 8F398446
	s_add_u32 s57, 48, s57                                     // 000000014B54: 803939B0
	v_mfma_f32_16x16x32_fp8_fp8 v[180:183], a[126:127], v[126:127], v[180:183]// 000000014B58: D3F300B4 0ED2FD7E
	s_cmp_ge_u32 s57, s73                                      // 000000014B60: BF094939
	s_cselect_b32 s56, 0, s56                                  // 000000014B64: 85383880
	v_mfma_f32_16x16x32_fp8_fp8 v[184:187], a[96:97], v[128:129], 0// 000000014B68: D3F300B8 0A030160
	v_mfma_f32_16x16x32_fp8_fp8 v[184:187], a[98:99], v[130:131], v[184:187]// 000000014B70: D3F300B8 0EE30562
	v_mfma_f32_16x16x32_fp8_fp8 v[184:187], a[100:101], v[132:133], v[184:187]// 000000014B78: D3F300B8 0EE30964
	v_mfma_f32_16x16x32_fp8_fp8 v[184:187], a[102:103], v[134:135], v[184:187]// 000000014B80: D3F300B8 0EE30D66
	v_mfma_f32_16x16x32_fp8_fp8 v[184:187], a[104:105], v[136:137], v[184:187]// 000000014B88: D3F300B8 0EE31168
	v_mfma_f32_16x16x32_fp8_fp8 v[184:187], a[106:107], v[138:139], v[184:187]// 000000014B90: D3F300B8 0EE3156A
	v_mfma_f32_16x16x32_fp8_fp8 v[184:187], a[108:109], v[140:141], v[184:187]// 000000014B98: D3F300B8 0EE3196C
	v_mfma_f32_16x16x32_fp8_fp8 v[184:187], a[110:111], v[142:143], v[184:187]// 000000014BA0: D3F300B8 0EE31D6E
	v_mfma_f32_16x16x32_fp8_fp8 v[188:191], a[112:113], v[128:129], 0// 000000014BA8: D3F300BC 0A030170
	v_mfma_f32_16x16x32_fp8_fp8 v[188:191], a[114:115], v[130:131], v[188:191]// 000000014BB0: D3F300BC 0EF30572
	v_mfma_f32_16x16x32_fp8_fp8 v[188:191], a[116:117], v[132:133], v[188:191]// 000000014BB8: D3F300BC 0EF30974
	v_mfma_f32_16x16x32_fp8_fp8 v[188:191], a[118:119], v[134:135], v[188:191]// 000000014BC0: D3F300BC 0EF30D76
	v_mfma_f32_16x16x32_fp8_fp8 v[188:191], a[120:121], v[136:137], v[188:191]// 000000014BC8: D3F300BC 0EF31178
	v_mfma_f32_16x16x32_fp8_fp8 v[188:191], a[122:123], v[138:139], v[188:191]// 000000014BD0: D3F300BC 0EF3157A
	v_mfma_f32_16x16x32_fp8_fp8 v[188:191], a[124:125], v[140:141], v[188:191]// 000000014BD8: D3F300BC 0EF3197C
	v_mfma_f32_16x16x32_fp8_fp8 v[188:191], a[126:127], v[142:143], v[188:191]// 000000014BE0: D3F300BC 0EF31D7E
	v_mfma_f32_16x16x32_fp8_fp8 v[192:195], a[96:97], v[144:145], 0// 000000014BE8: D3F300C0 0A032160
	v_mfma_f32_16x16x32_fp8_fp8 v[192:195], a[98:99], v[146:147], v[192:195]// 000000014BF0: D3F300C0 0F032562
	v_mfma_f32_16x16x32_fp8_fp8 v[192:195], a[100:101], v[148:149], v[192:195]// 000000014BF8: D3F300C0 0F032964
	v_mfma_f32_16x16x32_fp8_fp8 v[192:195], a[102:103], v[150:151], v[192:195]// 000000014C00: D3F300C0 0F032D66
	v_mfma_f32_16x16x32_fp8_fp8 v[192:195], a[104:105], v[152:153], v[192:195]// 000000014C08: D3F300C0 0F033168
	v_mfma_f32_16x16x32_fp8_fp8 v[192:195], a[106:107], v[154:155], v[192:195]// 000000014C10: D3F300C0 0F03356A
	v_mfma_f32_16x16x32_fp8_fp8 v[192:195], a[108:109], v[156:157], v[192:195]// 000000014C18: D3F300C0 0F03396C
	v_mfma_f32_16x16x32_fp8_fp8 v[192:195], a[110:111], v[158:159], v[192:195]// 000000014C20: D3F300C0 0F033D6E
	v_mfma_f32_16x16x32_fp8_fp8 v[196:199], a[112:113], v[144:145], 0// 000000014C28: D3F300C4 0A032170
	v_mfma_f32_16x16x32_fp8_fp8 v[196:199], a[114:115], v[146:147], v[196:199]// 000000014C30: D3F300C4 0F132572
	v_mfma_f32_16x16x32_fp8_fp8 v[196:199], a[116:117], v[148:149], v[196:199]// 000000014C38: D3F300C4 0F132974
	v_mfma_f32_16x16x32_fp8_fp8 v[196:199], a[118:119], v[150:151], v[196:199]// 000000014C40: D3F300C4 0F132D76
	v_mfma_f32_16x16x32_fp8_fp8 v[196:199], a[120:121], v[152:153], v[196:199]// 000000014C48: D3F300C4 0F133178
	v_mfma_f32_16x16x32_fp8_fp8 v[196:199], a[122:123], v[154:155], v[196:199]// 000000014C50: D3F300C4 0F13357A
	v_mfma_f32_16x16x32_fp8_fp8 v[196:199], a[124:125], v[156:157], v[196:199]// 000000014C58: D3F300C4 0F13397C
	v_mfma_f32_16x16x32_fp8_fp8 v[196:199], a[126:127], v[158:159], v[196:199]// 000000014C60: D3F300C4 0F133D7E
	v_add_u32_e32 v1, s56, v1                                  // 000000014C68: 68020238
	s_addk_i32 s70, 0x100                                      // 000000014C6C: B7460100
	s_cmp_lt_i32 s70, s71                                      // 000000014C70: BF044746
	s_cbranch_scc0 label_3E2F                                  // 000000014C74: BF84F391
	s_branch label_3E32                                        // 000000014C78: BF82F393

0000000000014c7c <label_4A9F>:
	s_lshr_b32 s60, s71, 4                                     // 000000014C7C: 8F3C8447
	s_cmp_eq_i32 s60, s73                                      // 000000014C80: BF00493C
	s_cbranch_scc1 label_5922                                  // 000000014C84: BF850E80
	s_lshr_b32 s60, s71, 8                                     // 000000014C88: 8F3C8847
	s_and_b32 s60, s60, 1                                      // 000000014C8C: 863C813C
	s_cmp_eq_i32 s60, 1                                        // 000000014C90: BF00813C
	s_cbranch_scc1 label_51E4                                  // 000000014C94: BF85073E
	s_waitcnt vmcnt(8) lgkmcnt(0)                              // 000000014C98: BF8C0078
	s_barrier                                                  // 000000014C9C: BF8A0000
	v_mfma_f32_16x16x32_fp8_fp8 v[112:115], a[0:1], v[80:81], 0// 000000014CA0: D3F30070 0A02A100
	v_mfma_f32_16x16x32_fp8_fp8 v[112:115], a[2:3], v[82:83], v[112:115]// 000000014CA8: D3F30070 0DC2A502
	v_mfma_f32_16x16x32_fp8_fp8 v[112:115], a[4:5], v[84:85], v[112:115]// 000000014CB0: D3F30070 0DC2A904
	v_mfma_f32_16x16x32_fp8_fp8 v[112:115], a[6:7], v[86:87], v[112:115]// 000000014CB8: D3F30070 0DC2AD06
	v_mfma_f32_16x16x32_fp8_fp8 v[116:119], a[8:9], v[80:81], 0// 000000014CC0: D3F30074 0A02A108
	v_mfma_f32_16x16x32_fp8_fp8 v[116:119], a[10:11], v[82:83], v[116:119]// 000000014CC8: D3F30074 0DD2A50A
	v_mfma_f32_16x16x32_fp8_fp8 v[116:119], a[12:13], v[84:85], v[116:119]// 000000014CD0: D3F30074 0DD2A90C
	v_mfma_f32_16x16x32_fp8_fp8 v[116:119], a[14:15], v[86:87], v[116:119]// 000000014CD8: D3F30074 0DD2AD0E
	v_mfma_f32_16x16x32_fp8_fp8 v[120:123], a[16:17], v[80:81], 0// 000000014CE0: D3F30078 0A02A110
	v_mfma_f32_16x16x32_fp8_fp8 v[120:123], a[18:19], v[82:83], v[120:123]// 000000014CE8: D3F30078 0DE2A512
	v_mfma_f32_16x16x32_fp8_fp8 v[120:123], a[20:21], v[84:85], v[120:123]// 000000014CF0: D3F30078 0DE2A914
	v_mfma_f32_16x16x32_fp8_fp8 v[120:123], a[22:23], v[86:87], v[120:123]// 000000014CF8: D3F30078 0DE2AD16
	v_mfma_f32_16x16x32_fp8_fp8 v[124:127], a[24:25], v[80:81], 0// 000000014D00: D3F3007C 0A02A118
	v_mfma_f32_16x16x32_fp8_fp8 v[124:127], a[26:27], v[82:83], v[124:127]// 000000014D08: D3F3007C 0DF2A51A
	v_mfma_f32_16x16x32_fp8_fp8 v[124:127], a[28:29], v[84:85], v[124:127]// 000000014D10: D3F3007C 0DF2A91C
	v_mfma_f32_16x16x32_fp8_fp8 v[124:127], a[30:31], v[86:87], v[124:127]// 000000014D18: D3F3007C 0DF2AD1E
	v_mfma_f32_16x16x32_fp8_fp8 v[128:131], a[0:1], v[88:89], 0// 000000014D20: D3F30080 0A02B100
	v_mfma_f32_16x16x32_fp8_fp8 v[128:131], a[2:3], v[90:91], v[128:131]// 000000014D28: D3F30080 0E02B502
	v_mfma_f32_16x16x32_fp8_fp8 v[128:131], a[4:5], v[92:93], v[128:131]// 000000014D30: D3F30080 0E02B904
	v_mfma_f32_16x16x32_fp8_fp8 v[128:131], a[6:7], v[94:95], v[128:131]// 000000014D38: D3F30080 0E02BD06
	v_mfma_f32_16x16x32_fp8_fp8 v[132:135], a[8:9], v[88:89], 0// 000000014D40: D3F30084 0A02B108
	v_mfma_f32_16x16x32_fp8_fp8 v[132:135], a[10:11], v[90:91], v[132:135]// 000000014D48: D3F30084 0E12B50A
	v_mfma_f32_16x16x32_fp8_fp8 v[132:135], a[12:13], v[92:93], v[132:135]// 000000014D50: D3F30084 0E12B90C
	v_mfma_f32_16x16x32_fp8_fp8 v[132:135], a[14:15], v[94:95], v[132:135]// 000000014D58: D3F30084 0E12BD0E
	v_mfma_f32_16x16x32_fp8_fp8 v[136:139], a[16:17], v[88:89], 0// 000000014D60: D3F30088 0A02B110
	v_mfma_f32_16x16x32_fp8_fp8 v[136:139], a[18:19], v[90:91], v[136:139]// 000000014D68: D3F30088 0E22B512
	v_mfma_f32_16x16x32_fp8_fp8 v[136:139], a[20:21], v[92:93], v[136:139]// 000000014D70: D3F30088 0E22B914
	v_mfma_f32_16x16x32_fp8_fp8 v[136:139], a[22:23], v[94:95], v[136:139]// 000000014D78: D3F30088 0E22BD16
	v_mfma_f32_16x16x32_fp8_fp8 v[140:143], a[24:25], v[88:89], 0// 000000014D80: D3F3008C 0A02B118
	v_mfma_f32_16x16x32_fp8_fp8 v[140:143], a[26:27], v[90:91], v[140:143]// 000000014D88: D3F3008C 0E32B51A
	v_mfma_f32_16x16x32_fp8_fp8 v[140:143], a[28:29], v[92:93], v[140:143]// 000000014D90: D3F3008C 0E32B91C
	v_mfma_f32_16x16x32_fp8_fp8 v[140:143], a[30:31], v[94:95], v[140:143]// 000000014D98: D3F3008C 0E32BD1E
	v_mfma_f32_16x16x32_fp8_fp8 v[144:147], a[0:1], v[96:97], 0// 000000014DA0: D3F30090 0A02C100
	v_mfma_f32_16x16x32_fp8_fp8 v[144:147], a[2:3], v[98:99], v[144:147]// 000000014DA8: D3F30090 0E42C502
	v_mfma_f32_16x16x32_fp8_fp8 v[144:147], a[4:5], v[100:101], v[144:147]// 000000014DB0: D3F30090 0E42C904
	v_mfma_f32_16x16x32_fp8_fp8 v[144:147], a[6:7], v[102:103], v[144:147]// 000000014DB8: D3F30090 0E42CD06
	v_mfma_f32_16x16x32_fp8_fp8 v[148:151], a[8:9], v[96:97], 0// 000000014DC0: D3F30094 0A02C108
	v_mfma_f32_16x16x32_fp8_fp8 v[148:151], a[10:11], v[98:99], v[148:151]// 000000014DC8: D3F30094 0E52C50A
	v_mfma_f32_16x16x32_fp8_fp8 v[148:151], a[12:13], v[100:101], v[148:151]// 000000014DD0: D3F30094 0E52C90C
	v_mfma_f32_16x16x32_fp8_fp8 v[148:151], a[14:15], v[102:103], v[148:151]// 000000014DD8: D3F30094 0E52CD0E
	v_mfma_f32_16x16x32_fp8_fp8 v[152:155], a[16:17], v[96:97], 0// 000000014DE0: D3F30098 0A02C110
	v_mfma_f32_16x16x32_fp8_fp8 v[152:155], a[18:19], v[98:99], v[152:155]// 000000014DE8: D3F30098 0E62C512
	v_mfma_f32_16x16x32_fp8_fp8 v[152:155], a[20:21], v[100:101], v[152:155]// 000000014DF0: D3F30098 0E62C914
	v_mfma_f32_16x16x32_fp8_fp8 v[152:155], a[22:23], v[102:103], v[152:155]// 000000014DF8: D3F30098 0E62CD16
	v_mfma_f32_16x16x32_fp8_fp8 v[156:159], a[24:25], v[96:97], 0// 000000014E00: D3F3009C 0A02C118
	v_mfma_f32_16x16x32_fp8_fp8 v[156:159], a[26:27], v[98:99], v[156:159]// 000000014E08: D3F3009C 0E72C51A
	v_mfma_f32_16x16x32_fp8_fp8 v[156:159], a[28:29], v[100:101], v[156:159]// 000000014E10: D3F3009C 0E72C91C
	v_mfma_f32_16x16x32_fp8_fp8 v[156:159], a[30:31], v[102:103], v[156:159]// 000000014E18: D3F3009C 0E72CD1E
	v_mov_b32_dpp v64, v42 row_shr:4 row_mask:0xf bank_mask:0xf// 000000014E20: 7E8002FA FF01142A
	v_mov_b32_dpp v65, v42 row_shl:4 row_mask:0xf bank_mask:0xf// 000000014E28: 7E8202FA FF01042A
	v_cndmask_b32_e64 v248, v42, v64, s[44:45]                 // 000000014E30: D10000F8 00B2812A
	v_cndmask_b32_e64 v249, v65, v42, s[44:45]                 // 000000014E38: D10000F9 00B25541
	v_mov_b32_dpp v64, v248 row_shr:8 row_mask:0xf bank_mask:0xf// 000000014E40: 7E8002FA FF0118F8
	v_mov_b32_dpp v65, v248 row_shl:8 row_mask:0xf bank_mask:0xf// 000000014E48: 7E8202FA FF0108F8
	v_mov_b32_dpp v66, v249 row_shr:8 row_mask:0xf bank_mask:0xf// 000000014E50: 7E8402FA FF0118F9
	v_mov_b32_dpp v67, v249 row_shl:8 row_mask:0xf bank_mask:0xf// 000000014E58: 7E8602FA FF0108F9
	v_mov_b32_e32 v68, v248                                    // 000000014E60: 7E8803F8
	v_mov_b32_e32 v69, v249                                    // 000000014E64: 7E8A03F9
	v_cndmask_b32_e64 v248, v68, v64, s[42:43]                 // 000000014E68: D10000F8 00AA8144
	v_cndmask_b32_e64 v250, v68, v65, s[78:79]                 // 000000014E70: D10000FA 013A8344
	v_cndmask_b32_e64 v249, v69, v66, s[42:43]                 // 000000014E78: D10000F9 00AA8545
	v_cndmask_b32_e64 v251, v69, v67, s[78:79]                 // 000000014E80: D10000FB 013A8745
	v_mov_b32_dpp v64, v57 row_shr:4 row_mask:0xf bank_mask:0xf// 000000014E88: 7E8002FA FF011439
	v_mov_b32_dpp v65, v57 row_shl:4 row_mask:0xf bank_mask:0xf// 000000014E90: 7E8202FA FF010439
	v_cndmask_b32_e64 v252, v57, v64, s[44:45]                 // 000000014E98: D10000FC 00B28139
	v_cndmask_b32_e64 v253, v65, v57, s[44:45]                 // 000000014EA0: D10000FD 00B27341
	v_mov_b32_dpp v64, v252 row_shr:8 row_mask:0xf bank_mask:0xf// 000000014EA8: 7E8002FA FF0118FC
	v_mov_b32_dpp v65, v252 row_shl:8 row_mask:0xf bank_mask:0xf// 000000014EB0: 7E8202FA FF0108FC
	v_mov_b32_dpp v66, v253 row_shr:8 row_mask:0xf bank_mask:0xf// 000000014EB8: 7E8402FA FF0118FD
	v_mov_b32_dpp v67, v253 row_shl:8 row_mask:0xf bank_mask:0xf// 000000014EC0: 7E8602FA FF0108FD
	v_mov_b32_e32 v68, v252                                    // 000000014EC8: 7E8803FC
	v_mov_b32_e32 v69, v253                                    // 000000014ECC: 7E8A03FD
	v_cndmask_b32_e64 v252, v68, v64, s[42:43]                 // 000000014ED0: D10000FC 00AA8144
	v_cndmask_b32_e64 v254, v68, v65, s[78:79]                 // 000000014ED8: D10000FE 013A8344
	v_cndmask_b32_e64 v253, v69, v66, s[42:43]                 // 000000014EE0: D10000FD 00AA8545
	v_cndmask_b32_e64 v255, v69, v67, s[78:79]                 // 000000014EE8: D10000FF 013A8745
	v_mul_f32_e32 v112, v18, v112                              // 000000014EF0: 0AE0E112
	v_mul_f32_e32 v113, v18, v113                              // 000000014EF4: 0AE2E312
	v_mul_f32_e32 v114, v18, v114                              // 000000014EF8: 0AE4E512
	v_mul_f32_e32 v115, v18, v115                              // 000000014EFC: 0AE6E712
	v_mul_f32_e32 v116, v18, v116                              // 000000014F00: 0AE8E912
	v_mul_f32_e32 v117, v18, v117                              // 000000014F04: 0AEAEB12
	v_mul_f32_e32 v118, v18, v118                              // 000000014F08: 0AECED12
	v_mul_f32_e32 v119, v18, v119                              // 000000014F0C: 0AEEEF12
	v_mul_f32_e32 v120, v18, v120                              // 000000014F10: 0AF0F112
	v_mul_f32_e32 v121, v18, v121                              // 000000014F14: 0AF2F312
	v_mul_f32_e32 v122, v18, v122                              // 000000014F18: 0AF4F512
	v_mul_f32_e32 v123, v18, v123                              // 000000014F1C: 0AF6F712
	v_mul_f32_e32 v124, v18, v124                              // 000000014F20: 0AF8F912
	v_mul_f32_e32 v125, v18, v125                              // 000000014F24: 0AFAFB12
	v_mul_f32_e32 v126, v18, v126                              // 000000014F28: 0AFCFD12
	v_mul_f32_e32 v127, v18, v127                              // 000000014F2C: 0AFEFF12
	v_mul_f32_dpp v112, v248, v112 quad_perm:[0,0,0,0] row_mask:0xf bank_mask:0xf// 000000014F30: 0AE0E0FA FF0000F8
	v_mul_f32_dpp v113, v248, v113 quad_perm:[1,1,1,1] row_mask:0xf bank_mask:0xf// 000000014F38: 0AE2E2FA FF0055F8
	v_mul_f32_dpp v114, v248, v114 quad_perm:[2,2,2,2] row_mask:0xf bank_mask:0xf// 000000014F40: 0AE4E4FA FF00AAF8
	v_mul_f32_dpp v115, v248, v115 quad_perm:[3,3,3,3] row_mask:0xf bank_mask:0xf// 000000014F48: 0AE6E6FA FF00FFF8
	v_mul_f32_dpp v116, v249, v116 quad_perm:[0,0,0,0] row_mask:0xf bank_mask:0xf// 000000014F50: 0AE8E8FA FF0000F9
	v_mul_f32_dpp v117, v249, v117 quad_perm:[1,1,1,1] row_mask:0xf bank_mask:0xf// 000000014F58: 0AEAEAFA FF0055F9
	v_mul_f32_dpp v118, v249, v118 quad_perm:[2,2,2,2] row_mask:0xf bank_mask:0xf// 000000014F60: 0AECECFA FF00AAF9
	v_mul_f32_dpp v119, v249, v119 quad_perm:[3,3,3,3] row_mask:0xf bank_mask:0xf// 000000014F68: 0AEEEEFA FF00FFF9
	v_mul_f32_dpp v120, v250, v120 quad_perm:[0,0,0,0] row_mask:0xf bank_mask:0xf// 000000014F70: 0AF0F0FA FF0000FA
	v_mul_f32_dpp v121, v250, v121 quad_perm:[1,1,1,1] row_mask:0xf bank_mask:0xf// 000000014F78: 0AF2F2FA FF0055FA
	v_mul_f32_dpp v122, v250, v122 quad_perm:[2,2,2,2] row_mask:0xf bank_mask:0xf// 000000014F80: 0AF4F4FA FF00AAFA
	v_mul_f32_dpp v123, v250, v123 quad_perm:[3,3,3,3] row_mask:0xf bank_mask:0xf// 000000014F88: 0AF6F6FA FF00FFFA
	v_mul_f32_dpp v124, v251, v124 quad_perm:[0,0,0,0] row_mask:0xf bank_mask:0xf// 000000014F90: 0AF8F8FA FF0000FB
	v_mul_f32_dpp v125, v251, v125 quad_perm:[1,1,1,1] row_mask:0xf bank_mask:0xf// 000000014F98: 0AFAFAFA FF0055FB
	v_mul_f32_dpp v126, v251, v126 quad_perm:[2,2,2,2] row_mask:0xf bank_mask:0xf// 000000014FA0: 0AFCFCFA FF00AAFB
	v_mul_f32_dpp v127, v251, v127 quad_perm:[3,3,3,3] row_mask:0xf bank_mask:0xf// 000000014FA8: 0AFEFEFA FF00FFFB
	s_and_b32 s60, s72, 0xff                                   // 000000014FB0: 863CFF48 000000FF
	v_mov_b32_e32 v65, s60                                     // 000000014FB8: 7E82023C
	v_lshrrev_b32_e32 v240, 4, v0                              // 000000014FBC: 21E00084
	v_mul_i32_i24_e32 v240, 4, v240                            // 000000014FC0: 0DE1E084
	s_mul_i32 s60, s7, 16                                      // 000000014FC4: 923C9007
	v_add_u32_e32 v240, s60, v240                              // 000000014FC8: 69E1E03C
	v_add_u32_e32 v241, 1, v240                                // 000000014FCC: 69E3E081
	v_add_u32_e32 v242, 2, v240                                // 000000014FD0: 69E5E082
	v_add_u32_e32 v243, 3, v240                                // 000000014FD4: 69E7E083
	v_mov_b32_e32 v64, 0xff800000                              // 000000014FD8: 7E8002FF FF800000
	v_cmp_lt_u32_e64 s[40:41], v240, v65                       // 000000014FE0: D0C90028 000283F0
	v_add_u32_e32 v240, 64, v240                               // 000000014FE8: 69E1E0C0
	s_nop 0                                                    // 000000014FEC: BF800000
	v_cndmask_b32_e64 v112, v64, v112, s[40:41]                // 000000014FF0: D1000070 00A2E140
	v_cmp_lt_u32_e64 s[40:41], v241, v65                       // 000000014FF8: D0C90028 000283F1
	v_add_u32_e32 v241, 64, v241                               // 000000015000: 69E3E2C0
	s_nop 0                                                    // 000000015004: BF800000
	v_cndmask_b32_e64 v113, v64, v113, s[40:41]                // 000000015008: D1000071 00A2E340
	v_cmp_lt_u32_e64 s[40:41], v242, v65                       // 000000015010: D0C90028 000283F2
	v_add_u32_e32 v242, 64, v242                               // 000000015018: 69E5E4C0
	s_nop 0                                                    // 00000001501C: BF800000
	v_cndmask_b32_e64 v114, v64, v114, s[40:41]                // 000000015020: D1000072 00A2E540
	v_cmp_lt_u32_e64 s[40:41], v243, v65                       // 000000015028: D0C90028 000283F3
	v_add_u32_e32 v243, 64, v243                               // 000000015030: 69E7E6C0
	s_nop 0                                                    // 000000015034: BF800000
	v_cndmask_b32_e64 v115, v64, v115, s[40:41]                // 000000015038: D1000073 00A2E740
	v_cmp_lt_u32_e64 s[40:41], v240, v65                       // 000000015040: D0C90028 000283F0
	v_add_u32_e32 v240, 64, v240                               // 000000015048: 69E1E0C0
	s_nop 0                                                    // 00000001504C: BF800000
	v_cndmask_b32_e64 v116, v64, v116, s[40:41]                // 000000015050: D1000074 00A2E940
	v_cmp_lt_u32_e64 s[40:41], v241, v65                       // 000000015058: D0C90028 000283F1
	v_add_u32_e32 v241, 64, v241                               // 000000015060: 69E3E2C0
	s_nop 0                                                    // 000000015064: BF800000
	v_cndmask_b32_e64 v117, v64, v117, s[40:41]                // 000000015068: D1000075 00A2EB40
	v_cmp_lt_u32_e64 s[40:41], v242, v65                       // 000000015070: D0C90028 000283F2
	v_add_u32_e32 v242, 64, v242                               // 000000015078: 69E5E4C0
	s_nop 0                                                    // 00000001507C: BF800000
	v_cndmask_b32_e64 v118, v64, v118, s[40:41]                // 000000015080: D1000076 00A2ED40
	v_cmp_lt_u32_e64 s[40:41], v243, v65                       // 000000015088: D0C90028 000283F3
	v_add_u32_e32 v243, 64, v243                               // 000000015090: 69E7E6C0
	s_nop 0                                                    // 000000015094: BF800000
	v_cndmask_b32_e64 v119, v64, v119, s[40:41]                // 000000015098: D1000077 00A2EF40
	v_cmp_lt_u32_e64 s[40:41], v240, v65                       // 0000000150A0: D0C90028 000283F0
	v_add_u32_e32 v240, 64, v240                               // 0000000150A8: 69E1E0C0
	s_nop 0                                                    // 0000000150AC: BF800000
	v_cndmask_b32_e64 v120, v64, v120, s[40:41]                // 0000000150B0: D1000078 00A2F140
	v_cmp_lt_u32_e64 s[40:41], v241, v65                       // 0000000150B8: D0C90028 000283F1
	v_add_u32_e32 v241, 64, v241                               // 0000000150C0: 69E3E2C0
	s_nop 0                                                    // 0000000150C4: BF800000
	v_cndmask_b32_e64 v121, v64, v121, s[40:41]                // 0000000150C8: D1000079 00A2F340
	v_cmp_lt_u32_e64 s[40:41], v242, v65                       // 0000000150D0: D0C90028 000283F2
	v_add_u32_e32 v242, 64, v242                               // 0000000150D8: 69E5E4C0
	s_nop 0                                                    // 0000000150DC: BF800000
	v_cndmask_b32_e64 v122, v64, v122, s[40:41]                // 0000000150E0: D100007A 00A2F540
	v_cmp_lt_u32_e64 s[40:41], v243, v65                       // 0000000150E8: D0C90028 000283F3
	v_add_u32_e32 v243, 64, v243                               // 0000000150F0: 69E7E6C0
	s_nop 0                                                    // 0000000150F4: BF800000
	v_cndmask_b32_e64 v123, v64, v123, s[40:41]                // 0000000150F8: D100007B 00A2F740
	v_cmp_lt_u32_e64 s[40:41], v240, v65                       // 000000015100: D0C90028 000283F0
	v_add_u32_e32 v240, 64, v240                               // 000000015108: 69E1E0C0
	s_nop 0                                                    // 00000001510C: BF800000
	v_cndmask_b32_e64 v124, v64, v124, s[40:41]                // 000000015110: D100007C 00A2F940
	v_cmp_lt_u32_e64 s[40:41], v241, v65                       // 000000015118: D0C90028 000283F1
	v_add_u32_e32 v241, 64, v241                               // 000000015120: 69E3E2C0
	s_nop 0                                                    // 000000015124: BF800000
	v_cndmask_b32_e64 v125, v64, v125, s[40:41]                // 000000015128: D100007D 00A2FB40
	v_cmp_lt_u32_e64 s[40:41], v242, v65                       // 000000015130: D0C90028 000283F2
	v_add_u32_e32 v242, 64, v242                               // 000000015138: 69E5E4C0
	s_nop 0                                                    // 00000001513C: BF800000
	v_cndmask_b32_e64 v126, v64, v126, s[40:41]                // 000000015140: D100007E 00A2FD40
	v_cmp_lt_u32_e64 s[40:41], v243, v65                       // 000000015148: D0C90028 000283F3
	v_add_u32_e32 v243, 64, v243                               // 000000015150: 69E7E6C0
	s_nop 0                                                    // 000000015154: BF800000
	v_cndmask_b32_e64 v127, v64, v127, s[40:41]                // 000000015158: D100007F 00A2FF40
	v_mov_b32_e32 v48, v112                                    // 000000015160: 7E600370
	v_max3_f32 v48, v112, v113, v48                            // 000000015164: D1D30030 04C2E370
	v_max3_f32 v48, v114, v115, v48                            // 00000001516C: D1D30030 04C2E772
	v_max3_f32 v48, v116, v117, v48                            // 000000015174: D1D30030 04C2EB74
	v_max3_f32 v48, v118, v119, v48                            // 00000001517C: D1D30030 04C2EF76
	v_max3_f32 v48, v120, v121, v48                            // 000000015184: D1D30030 04C2F378
	v_max3_f32 v48, v122, v123, v48                            // 00000001518C: D1D30030 04C2F77A
	v_max3_f32 v48, v124, v125, v48                            // 000000015194: D1D30030 04C2FB7C
	v_max3_f32 v48, v126, v127, v48                            // 00000001519C: D1D30030 04C2FF7E
	ds_write_b32 v8, v48 offset:16896                          // 0000000151A4: D81A4200 00003008
	v_mul_u32_u24_dpp v64, v17, v54 row_newbcast:1 row_mask:0xf bank_mask:0xf// 0000000151AC: 10806CFA FF015111
	v_mul_u32_u24_dpp v65, v17, v54 row_newbcast:5 row_mask:0xf bank_mask:0xf// 0000000151B4: 10826CFA FF015511
	v_mul_u32_u24_dpp v66, v17, v54 row_newbcast:9 row_mask:0xf bank_mask:0xf// 0000000151BC: 10846CFA FF015911
	v_mul_u32_u24_dpp v67, v17, v54 row_newbcast:13 row_mask:0xf bank_mask:0xf// 0000000151C4: 10866CFA FF015D11
	v_add_u32_e32 v34, v64, v6                                 // 0000000151CC: 68440D40
	v_add_u32_e32 v35, v65, v6                                 // 0000000151D0: 68460D41
	v_add_u32_e32 v36, v66, v6                                 // 0000000151D4: 68480D42
	v_add_u32_e32 v37, v67, v6                                 // 0000000151D8: 684A0D43
	v_mul_f32_e32 v208, v49, v208                              // 0000000151DC: 0BA1A131
	v_mul_f32_e32 v209, v49, v209                              // 0000000151E0: 0BA3A331
	v_mul_f32_e32 v210, v49, v210                              // 0000000151E4: 0BA5A531
	v_mul_f32_e32 v211, v49, v211                              // 0000000151E8: 0BA7A731
	v_mul_f32_e32 v212, v49, v212                              // 0000000151EC: 0BA9A931
	v_mul_f32_e32 v213, v49, v213                              // 0000000151F0: 0BABAB31
	v_mul_f32_e32 v214, v49, v214                              // 0000000151F4: 0BADAD31
	v_mul_f32_e32 v215, v49, v215                              // 0000000151F8: 0BAFAF31
	s_waitcnt lgkmcnt(0)                                       // 0000000151FC: BF8CC07F
	s_barrier                                                  // 000000015200: BF8A0000
	ds_read_b32 v64, v7 offset:16896                           // 000000015204: D86C4200 40000007
	ds_read_b32 v65, v7 offset:16960                           // 00000001520C: D86C4240 41000007
	ds_read_b32 v66, v7 offset:17024                           // 000000015214: D86C4280 42000007
	ds_read_b32 v67, v7 offset:17088                           // 00000001521C: D86C42C0 43000007
	ds_read_b32 v68, v7 offset:17152                           // 000000015224: D86C4300 44000007
	ds_read_b32 v69, v7 offset:17216                           // 00000001522C: D86C4340 45000007
	ds_read_b32 v70, v7 offset:17280                           // 000000015234: D86C4380 46000007
	ds_read_b32 v71, v7 offset:17344                           // 00000001523C: D86C43C0 47000007
	ds_read_b32 v72, v7 offset:17408                           // 000000015244: D86C4400 48000007
	ds_read_b32 v73, v7 offset:17472                           // 00000001524C: D86C4440 49000007
	ds_read_b32 v74, v7 offset:17536                           // 000000015254: D86C4480 4A000007
	ds_read_b32 v75, v7 offset:17600                           // 00000001525C: D86C44C0 4B000007
	ds_read_b32 v76, v7 offset:17664                           // 000000015264: D86C4500 4C000007
	ds_read_b32 v77, v7 offset:17728                           // 00000001526C: D86C4540 4D000007
	ds_read_b32 v78, v7 offset:17792                           // 000000015274: D86C4580 4E000007
	ds_read_b32 v79, v7 offset:17856                           // 00000001527C: D86C45C0 4F000007
	v_mul_f32_e32 v176, v44, v176                              // 000000015284: 0B61612C
	v_mul_f32_e32 v177, v44, v177                              // 000000015288: 0B63632C
	v_mul_f32_e32 v178, v44, v178                              // 00000001528C: 0B65652C
	v_mul_f32_e32 v179, v44, v179                              // 000000015290: 0B67672C
	v_mul_f32_e32 v180, v44, v180                              // 000000015294: 0B69692C
	v_mul_f32_e32 v181, v44, v181                              // 000000015298: 0B6B6B2C
	v_mul_f32_e32 v182, v44, v182                              // 00000001529C: 0B6D6D2C
	v_mul_f32_e32 v183, v44, v183                              // 0000000152A0: 0B6F6F2C
	s_waitcnt lgkmcnt(0)                                       // 0000000152A4: BF8CC07F
	v_max3_f32 v48, v64, v65, v48                              // 0000000152A8: D1D30030 04C28340
	v_max3_f32 v48, v66, v67, v48                              // 0000000152B0: D1D30030 04C28742
	v_max3_f32 v48, v68, v69, v48                              // 0000000152B8: D1D30030 04C28B44
	v_max3_f32 v48, v70, v71, v48                              // 0000000152C0: D1D30030 04C28F46
	v_max3_f32 v48, v72, v73, v48                              // 0000000152C8: D1D30030 04C29348
	v_max3_f32 v48, v74, v75, v48                              // 0000000152D0: D1D30030 04C2974A
	v_max3_f32 v48, v76, v77, v48                              // 0000000152D8: D1D30030 04C29B4C
	v_max3_f32 v48, v78, v79, v48                              // 0000000152E0: D1D30030 04C29F4E
	v_mov_b32_e32 v64, 0xff800000                              // 0000000152E8: 7E8002FF FF800000
	v_cmp_eq_u32_e64 s[40:41], v64, v11                        // 0000000152F0: D0CA0028 00021740
	s_nop 1                                                    // 0000000152F8: BF800001
	v_max_f32_e32 v15, v48, v11                                // 0000000152FC: 161E1730
	v_mul_f32_e32 v53, s64, v15                                // 000000015300: 0A6A1E40
	v_fma_f32 v112, v112, s64, -v53                            // 000000015304: D1CB0070 84D48170
	v_fma_f32 v113, v113, s64, -v53                            // 00000001530C: D1CB0071 84D48171
	v_fma_f32 v114, v114, s64, -v53                            // 000000015314: D1CB0072 84D48172
	v_fma_f32 v115, v115, s64, -v53                            // 00000001531C: D1CB0073 84D48173
	v_fma_f32 v116, v116, s64, -v53                            // 000000015324: D1CB0074 84D48174
	v_fma_f32 v117, v117, s64, -v53                            // 00000001532C: D1CB0075 84D48175
	v_fma_f32 v118, v118, s64, -v53                            // 000000015334: D1CB0076 84D48176
	v_fma_f32 v119, v119, s64, -v53                            // 00000001533C: D1CB0077 84D48177
	v_fma_f32 v120, v120, s64, -v53                            // 000000015344: D1CB0078 84D48178
	v_fma_f32 v121, v121, s64, -v53                            // 00000001534C: D1CB0079 84D48179
	v_fma_f32 v122, v122, s64, -v53                            // 000000015354: D1CB007A 84D4817A
	v_fma_f32 v123, v123, s64, -v53                            // 00000001535C: D1CB007B 84D4817B
	v_fma_f32 v124, v124, s64, -v53                            // 000000015364: D1CB007C 84D4817C
	v_fma_f32 v125, v125, s64, -v53                            // 00000001536C: D1CB007D 84D4817D
	v_fma_f32 v126, v126, s64, -v53                            // 000000015374: D1CB007E 84D4817E
	v_fma_f32 v127, v127, s64, -v53                            // 00000001537C: D1CB007F 84D4817F
	v_exp_f32_e32 v112, v112                                   // 000000015384: 7EE04170
	v_exp_f32_e32 v113, v113                                   // 000000015388: 7EE24171
	v_exp_f32_e32 v114, v114                                   // 00000001538C: 7EE44172
	v_exp_f32_e32 v115, v115                                   // 000000015390: 7EE64173
	v_exp_f32_e32 v116, v116                                   // 000000015394: 7EE84174
	v_exp_f32_e32 v117, v117                                   // 000000015398: 7EEA4175
	v_exp_f32_e32 v118, v118                                   // 00000001539C: 7EEC4176
	v_exp_f32_e32 v119, v119                                   // 0000000153A0: 7EEE4177
	v_exp_f32_e32 v120, v120                                   // 0000000153A4: 7EF04178
	v_exp_f32_e32 v121, v121                                   // 0000000153A8: 7EF24179
	v_exp_f32_e32 v122, v122                                   // 0000000153AC: 7EF4417A
	v_exp_f32_e32 v123, v123                                   // 0000000153B0: 7EF6417B
	v_exp_f32_e32 v124, v124                                   // 0000000153B4: 7EF8417C
	v_exp_f32_e32 v125, v125                                   // 0000000153B8: 7EFA417D
	v_exp_f32_e32 v126, v126                                   // 0000000153BC: 7EFC417E
	v_exp_f32_e32 v127, v127                                   // 0000000153C0: 7EFE417F
	v_mul_f32_dpp v240, v252, v112 quad_perm:[0,0,0,0] row_mask:0xf bank_mask:0xf// 0000000153C4: 0BE0E0FA FF0000FC
	v_mul_f32_dpp v241, v252, v113 quad_perm:[1,1,1,1] row_mask:0xf bank_mask:0xf// 0000000153CC: 0BE2E2FA FF0055FC
	v_mul_f32_dpp v242, v252, v114 quad_perm:[2,2,2,2] row_mask:0xf bank_mask:0xf// 0000000153D4: 0BE4E4FA FF00AAFC
	v_mul_f32_dpp v243, v252, v115 quad_perm:[3,3,3,3] row_mask:0xf bank_mask:0xf// 0000000153DC: 0BE6E6FA FF00FFFC
	v_mul_f32_dpp v244, v253, v116 quad_perm:[0,0,0,0] row_mask:0xf bank_mask:0xf// 0000000153E4: 0BE8E8FA FF0000FD
	v_mul_f32_dpp v245, v253, v117 quad_perm:[1,1,1,1] row_mask:0xf bank_mask:0xf// 0000000153EC: 0BEAEAFA FF0055FD
	v_mul_f32_dpp v246, v253, v118 quad_perm:[2,2,2,2] row_mask:0xf bank_mask:0xf// 0000000153F4: 0BECECFA FF00AAFD
	v_mul_f32_dpp v247, v253, v119 quad_perm:[3,3,3,3] row_mask:0xf bank_mask:0xf// 0000000153FC: 0BEEEEFA FF00FFFD
	v_mul_f32_dpp v248, v254, v120 quad_perm:[0,0,0,0] row_mask:0xf bank_mask:0xf// 000000015404: 0BF0F0FA FF0000FE
	v_mul_f32_dpp v249, v254, v121 quad_perm:[1,1,1,1] row_mask:0xf bank_mask:0xf// 00000001540C: 0BF2F2FA FF0055FE
	v_mul_f32_dpp v250, v254, v122 quad_perm:[2,2,2,2] row_mask:0xf bank_mask:0xf// 000000015414: 0BF4F4FA FF00AAFE
	v_mul_f32_dpp v251, v254, v123 quad_perm:[3,3,3,3] row_mask:0xf bank_mask:0xf// 00000001541C: 0BF6F6FA FF00FFFE
	v_mul_f32_dpp v252, v255, v124 quad_perm:[0,0,0,0] row_mask:0xf bank_mask:0xf// 000000015424: 0BF8F8FA FF0000FF
	v_mul_f32_dpp v253, v255, v125 quad_perm:[1,1,1,1] row_mask:0xf bank_mask:0xf// 00000001542C: 0BFAFAFA FF0055FF
	v_mul_f32_dpp v254, v255, v126 quad_perm:[2,2,2,2] row_mask:0xf bank_mask:0xf// 000000015434: 0BFCFCFA FF00AAFF
	v_mul_f32_dpp v255, v255, v127 quad_perm:[3,3,3,3] row_mask:0xf bank_mask:0xf// 00000001543C: 0BFEFEFA FF00FFFF
	v_mov_b32_e32 v48, 0x358637bd                              // 000000015444: 7E6002FF 358637BD
	v_max3_f32 v48, |v240|, |v241|, v48                        // 00000001544C: D1D30330 04C3E3F0
	v_max3_f32 v48, |v242|, |v243|, v48                        // 000000015454: D1D30330 04C3E7F2
	v_max3_f32 v48, |v244|, |v245|, v48                        // 00000001545C: D1D30330 04C3EBF4
	v_max3_f32 v48, |v246|, |v247|, v48                        // 000000015464: D1D30330 04C3EFF6
	v_max3_f32 v48, |v248|, |v249|, v48                        // 00000001546C: D1D30330 04C3F3F8
	v_max3_f32 v48, |v250|, |v251|, v48                        // 000000015474: D1D30330 04C3F7FA
	v_max3_f32 v48, |v252|, |v253|, v48                        // 00000001547C: D1D30330 04C3FBFC
	v_max3_f32 v48, |v254|, |v255|, v48                        // 000000015484: D1D30330 04C3FFFE
	ds_write_b32 v8, v48 offset:20992                          // 00000001548C: D81A5200 00003008
	v_sub_f32_e32 v49, v11, v15                                // 000000015494: 04621F0B
	v_cndmask_b32_e64 v49, v49, 0, s[40:41]                    // 000000015498: D1000031 00A10131
	v_mov_b32_e32 v11, v15                                     // 0000000154A0: 7E16030F
	v_mul_f32_e32 v49, s64, v49                                // 0000000154A4: 0A626240
	v_exp_f32_e32 v49, v49                                     // 0000000154A8: 7E624131
	s_waitcnt lgkmcnt(0)                                       // 0000000154AC: BF8CC07F
	s_barrier                                                  // 0000000154B0: BF8A0000
	ds_read_b32 v64, v7 offset:20992                           // 0000000154B4: D86C5200 40000007
	ds_read_b32 v65, v7 offset:21056                           // 0000000154BC: D86C5240 41000007
	ds_read_b32 v66, v7 offset:21120                           // 0000000154C4: D86C5280 42000007
	ds_read_b32 v67, v7 offset:21184                           // 0000000154CC: D86C52C0 43000007
	ds_read_b32 v68, v7 offset:21248                           // 0000000154D4: D86C5300 44000007
	ds_read_b32 v69, v7 offset:21312                           // 0000000154DC: D86C5340 45000007
	ds_read_b32 v70, v7 offset:21376                           // 0000000154E4: D86C5380 46000007
	ds_read_b32 v71, v7 offset:21440                           // 0000000154EC: D86C53C0 47000007
	ds_read_b32 v72, v7 offset:21504                           // 0000000154F4: D86C5400 48000007
	ds_read_b32 v73, v7 offset:21568                           // 0000000154FC: D86C5440 49000007
	ds_read_b32 v74, v7 offset:21632                           // 000000015504: D86C5480 4A000007
	ds_read_b32 v75, v7 offset:21696                           // 00000001550C: D86C54C0 4B000007
	ds_read_b32 v76, v7 offset:21760                           // 000000015514: D86C5500 4C000007
	ds_read_b32 v77, v7 offset:21824                           // 00000001551C: D86C5540 4D000007
	ds_read_b32 v78, v7 offset:21888                           // 000000015524: D86C5580 4E000007
	ds_read_b32 v79, v7 offset:21952                           // 00000001552C: D86C55C0 4F000007
	v_mul_f32_e32 v38, v49, v38                                // 000000015534: 0A4C4D31
	v_mov_b32_e32 v15, v112                                    // 000000015538: 7E1E0370
	v_add_f32_e32 v15, v113, v15                               // 00000001553C: 021E1F71
	v_add_f32_e32 v15, v114, v15                               // 000000015540: 021E1F72
	v_add_f32_e32 v15, v115, v15                               // 000000015544: 021E1F73
	v_add_f32_e32 v15, v116, v15                               // 000000015548: 021E1F74
	v_add_f32_e32 v15, v117, v15                               // 00000001554C: 021E1F75
	v_add_f32_e32 v15, v118, v15                               // 000000015550: 021E1F76
	v_add_f32_e32 v15, v119, v15                               // 000000015554: 021E1F77
	v_add_f32_e32 v15, v120, v15                               // 000000015558: 021E1F78
	v_add_f32_e32 v15, v121, v15                               // 00000001555C: 021E1F79
	v_add_f32_e32 v15, v122, v15                               // 000000015560: 021E1F7A
	v_add_f32_e32 v15, v123, v15                               // 000000015564: 021E1F7B
	v_add_f32_e32 v15, v124, v15                               // 000000015568: 021E1F7C
	v_add_f32_e32 v15, v125, v15                               // 00000001556C: 021E1F7D
	v_add_f32_e32 v15, v126, v15                               // 000000015570: 021E1F7E
	v_add_f32_e32 v15, v127, v15                               // 000000015574: 021E1F7F
	v_add_f32_e32 v38, v15, v38                                // 000000015578: 024C4D0F
	s_waitcnt lgkmcnt(0)                                       // 00000001557C: BF8CC07F
	v_max3_f32 v48, |v64|, |v65|, v48                          // 000000015580: D1D30330 04C28340
	v_max3_f32 v48, |v66|, |v67|, v48                          // 000000015588: D1D30330 04C28742
	v_max3_f32 v48, |v68|, |v69|, v48                          // 000000015590: D1D30330 04C28B44
	v_max3_f32 v48, |v70|, |v71|, v48                          // 000000015598: D1D30330 04C28F46
	v_max3_f32 v48, |v72|, |v73|, v48                          // 0000000155A0: D1D30330 04C29348
	v_max3_f32 v48, |v74|, |v75|, v48                          // 0000000155A8: D1D30330 04C2974A
	v_max3_f32 v48, |v76|, |v77|, v48                          // 0000000155B0: D1D30330 04C29B4C
	v_max3_f32 v48, |v78|, |v79|, v48                          // 0000000155B8: D1D30330 04C29F4E
	s_nop 2                                                    // 0000000155C0: BF800002
	v_rcp_f32_e32 v48, v48                                     // 0000000155C4: 7E604530
	s_nop 1                                                    // 0000000155C8: BF800001
	v_mul_f32_e32 v48, 0x43e00000, v48                         // 0000000155CC: 0A6060FF 43E00000
	v_mul_f32_e32 v112, v48, v240                              // 0000000155D4: 0AE1E130
	v_mul_f32_e32 v113, v48, v241                              // 0000000155D8: 0AE3E330
	v_mul_f32_e32 v114, v48, v242                              // 0000000155DC: 0AE5E530
	v_mul_f32_e32 v115, v48, v243                              // 0000000155E0: 0AE7E730
	v_mul_f32_e32 v116, v48, v244                              // 0000000155E4: 0AE9E930
	v_mul_f32_e32 v117, v48, v245                              // 0000000155E8: 0AEBEB30
	v_mul_f32_e32 v118, v48, v246                              // 0000000155EC: 0AEDED30
	v_mul_f32_e32 v119, v48, v247                              // 0000000155F0: 0AEFEF30
	v_mul_f32_e32 v120, v48, v248                              // 0000000155F4: 0AF1F130
	v_mul_f32_e32 v121, v48, v249                              // 0000000155F8: 0AF3F330
	v_mul_f32_e32 v122, v48, v250                              // 0000000155FC: 0AF5F530
	v_mul_f32_e32 v123, v48, v251                              // 000000015600: 0AF7F730
	v_mul_f32_e32 v124, v48, v252                              // 000000015604: 0AF9F930
	v_mul_f32_e32 v125, v48, v253                              // 000000015608: 0AFBFB30
	v_mul_f32_e32 v126, v48, v254                              // 00000001560C: 0AFDFD30
	v_mul_f32_e32 v127, v48, v255                              // 000000015610: 0AFFFF30
	v_cvt_pk_fp8_f32 v112, v112, v113                          // 000000015614: D2A20070 0002E370
	v_cvt_pk_fp8_f32 v112, v114, v115 op_sel:[0,0,1]           // 00000001561C: D2A24070 0002E772
	v_cvt_pk_fp8_f32 v113, v116, v117                          // 000000015624: D2A20071 0002EB74
	v_cvt_pk_fp8_f32 v113, v118, v119 op_sel:[0,0,1]           // 00000001562C: D2A24071 0002EF76
	v_cvt_pk_fp8_f32 v114, v120, v121                          // 000000015634: D2A20072 0002F378
	v_cvt_pk_fp8_f32 v114, v122, v123 op_sel:[0,0,1]           // 00000001563C: D2A24072 0002F77A
	v_cvt_pk_fp8_f32 v115, v124, v125                          // 000000015644: D2A20073 0002FB7C
	v_cvt_pk_fp8_f32 v115, v126, v127 op_sel:[0,0,1]           // 00000001564C: D2A24073 0002FF7E
	ds_write_b32 v10, v112 offset:25088                        // 000000015654: D81A6200 0000700A
	ds_write_b32 v10, v113 offset:26112                        // 00000001565C: D81A6600 0000710A
	ds_write_b32 v10, v114 offset:27136                        // 000000015664: D81A6A00 0000720A
	ds_write_b32 v10, v115 offset:28160                        // 00000001566C: D81A6E00 0000730A
	v_add_f32_e32 v208, v208, v176                             // 000000015674: 03A161D0
	v_add_f32_e32 v209, v209, v177                             // 000000015678: 03A363D1
	v_add_f32_e32 v210, v210, v178                             // 00000001567C: 03A565D2
	v_add_f32_e32 v211, v211, v179                             // 000000015680: 03A767D3
	v_add_f32_e32 v212, v212, v180                             // 000000015684: 03A969D4
	v_add_f32_e32 v213, v213, v181                             // 000000015688: 03AB6BD5
	v_add_f32_e32 v214, v214, v182                             // 00000001568C: 03AD6DD6
	v_add_f32_e32 v215, v215, v183                             // 000000015690: 03AF6FD7
	v_rcp_f32_e32 v44, v48                                     // 000000015694: 7E584530
	s_waitcnt lgkmcnt(0)                                       // 000000015698: BF8CC07F
	s_barrier                                                  // 00000001569C: BF8A0000
	ds_read_b64 v[112:113], v9 offset:25088                    // 0000000156A0: D8EC6200 70000009
	ds_read_b64 v[114:115], v9 offset:25216                    // 0000000156A8: D8EC6280 72000009
	ds_read_b64 v[116:117], v9 offset:26112                    // 0000000156B0: D8EC6600 74000009
	ds_read_b64 v[118:119], v9 offset:26240                    // 0000000156B8: D8EC6680 76000009
	ds_read_b64 v[120:121], v9 offset:27136                    // 0000000156C0: D8EC6A00 78000009
	ds_read_b64 v[122:123], v9 offset:27264                    // 0000000156C8: D8EC6A80 7A000009
	ds_read_b64 v[124:125], v9 offset:28160                    // 0000000156D0: D8EC6E00 7C000009
	ds_read_b64 v[126:127], v9 offset:28288                    // 0000000156D8: D8EC6E80 7E000009
	v_mov_b32_dpp v64, v42 row_shr:4 row_mask:0xf bank_mask:0xf// 0000000156E0: 7E8002FA FF01142A
	v_mov_b32_dpp v65, v42 row_shl:4 row_mask:0xf bank_mask:0xf// 0000000156E8: 7E8202FA FF01042A
	v_cndmask_b32_e64 v248, v42, v64, s[44:45]                 // 0000000156F0: D10000F8 00B2812A
	v_cndmask_b32_e64 v249, v65, v42, s[44:45]                 // 0000000156F8: D10000F9 00B25541
	v_mov_b32_dpp v64, v248 row_shr:8 row_mask:0xf bank_mask:0xf// 000000015700: 7E8002FA FF0118F8
	v_mov_b32_dpp v65, v248 row_shl:8 row_mask:0xf bank_mask:0xf// 000000015708: 7E8202FA FF0108F8
	v_mov_b32_dpp v66, v249 row_shr:8 row_mask:0xf bank_mask:0xf// 000000015710: 7E8402FA FF0118F9
	v_mov_b32_dpp v67, v249 row_shl:8 row_mask:0xf bank_mask:0xf// 000000015718: 7E8602FA FF0108F9
	v_mov_b32_e32 v68, v248                                    // 000000015720: 7E8803F8
	v_mov_b32_e32 v69, v249                                    // 000000015724: 7E8A03F9
	v_cndmask_b32_e64 v248, v68, v64, s[42:43]                 // 000000015728: D10000F8 00AA8144
	v_cndmask_b32_e64 v250, v68, v65, s[78:79]                 // 000000015730: D10000FA 013A8344
	v_cndmask_b32_e64 v249, v69, v66, s[42:43]                 // 000000015738: D10000F9 00AA8545
	v_cndmask_b32_e64 v251, v69, v67, s[78:79]                 // 000000015740: D10000FB 013A8745
	v_mov_b32_dpp v64, v57 row_shr:4 row_mask:0xf bank_mask:0xf// 000000015748: 7E8002FA FF011439
	v_mov_b32_dpp v65, v57 row_shl:4 row_mask:0xf bank_mask:0xf// 000000015750: 7E8202FA FF010439
	v_cndmask_b32_e64 v252, v57, v64, s[44:45]                 // 000000015758: D10000FC 00B28139
	v_cndmask_b32_e64 v253, v65, v57, s[44:45]                 // 000000015760: D10000FD 00B27341
	v_mov_b32_dpp v64, v252 row_shr:8 row_mask:0xf bank_mask:0xf// 000000015768: 7E8002FA FF0118FC
	v_mov_b32_dpp v65, v252 row_shl:8 row_mask:0xf bank_mask:0xf// 000000015770: 7E8202FA FF0108FC
	v_mov_b32_dpp v66, v253 row_shr:8 row_mask:0xf bank_mask:0xf// 000000015778: 7E8402FA FF0118FD
	v_mov_b32_dpp v67, v253 row_shl:8 row_mask:0xf bank_mask:0xf// 000000015780: 7E8602FA FF0108FD
	v_mov_b32_e32 v68, v252                                    // 000000015788: 7E8803FC
	v_mov_b32_e32 v69, v253                                    // 00000001578C: 7E8A03FD
	v_cndmask_b32_e64 v252, v68, v64, s[42:43]                 // 000000015790: D10000FC 00AA8144
	v_cndmask_b32_e64 v254, v68, v65, s[78:79]                 // 000000015798: D10000FE 013A8344
	v_cndmask_b32_e64 v253, v69, v66, s[42:43]                 // 0000000157A0: D10000FD 00AA8545
	v_cndmask_b32_e64 v255, v69, v67, s[78:79]                 // 0000000157A8: D10000FF 013A8745
	v_mul_f32_e32 v128, v19, v128                              // 0000000157B0: 0B010113
	v_mul_f32_e32 v129, v19, v129                              // 0000000157B4: 0B030313
	v_mul_f32_e32 v130, v19, v130                              // 0000000157B8: 0B050513
	v_mul_f32_e32 v131, v19, v131                              // 0000000157BC: 0B070713
	v_mul_f32_e32 v132, v19, v132                              // 0000000157C0: 0B090913
	v_mul_f32_e32 v133, v19, v133                              // 0000000157C4: 0B0B0B13
	v_mul_f32_e32 v134, v19, v134                              // 0000000157C8: 0B0D0D13
	v_mul_f32_e32 v135, v19, v135                              // 0000000157CC: 0B0F0F13
	v_mul_f32_e32 v136, v19, v136                              // 0000000157D0: 0B111113
	v_mul_f32_e32 v137, v19, v137                              // 0000000157D4: 0B131313
	v_mul_f32_e32 v138, v19, v138                              // 0000000157D8: 0B151513
	v_mul_f32_e32 v139, v19, v139                              // 0000000157DC: 0B171713
	v_mul_f32_e32 v140, v19, v140                              // 0000000157E0: 0B191913
	v_mul_f32_e32 v141, v19, v141                              // 0000000157E4: 0B1B1B13
	v_mul_f32_e32 v142, v19, v142                              // 0000000157E8: 0B1D1D13
	v_mul_f32_e32 v143, v19, v143                              // 0000000157EC: 0B1F1F13
	v_mul_f32_dpp v128, v248, v128 quad_perm:[0,0,0,0] row_mask:0xf bank_mask:0xf// 0000000157F0: 0B0100FA FF0000F8
	v_mul_f32_dpp v129, v248, v129 quad_perm:[1,1,1,1] row_mask:0xf bank_mask:0xf// 0000000157F8: 0B0302FA FF0055F8
	v_mul_f32_dpp v130, v248, v130 quad_perm:[2,2,2,2] row_mask:0xf bank_mask:0xf// 000000015800: 0B0504FA FF00AAF8
	v_mul_f32_dpp v131, v248, v131 quad_perm:[3,3,3,3] row_mask:0xf bank_mask:0xf// 000000015808: 0B0706FA FF00FFF8
	v_mul_f32_dpp v132, v249, v132 quad_perm:[0,0,0,0] row_mask:0xf bank_mask:0xf// 000000015810: 0B0908FA FF0000F9
	v_mul_f32_dpp v133, v249, v133 quad_perm:[1,1,1,1] row_mask:0xf bank_mask:0xf// 000000015818: 0B0B0AFA FF0055F9
	v_mul_f32_dpp v134, v249, v134 quad_perm:[2,2,2,2] row_mask:0xf bank_mask:0xf// 000000015820: 0B0D0CFA FF00AAF9
	v_mul_f32_dpp v135, v249, v135 quad_perm:[3,3,3,3] row_mask:0xf bank_mask:0xf// 000000015828: 0B0F0EFA FF00FFF9
	v_mul_f32_dpp v136, v250, v136 quad_perm:[0,0,0,0] row_mask:0xf bank_mask:0xf// 000000015830: 0B1110FA FF0000FA
	v_mul_f32_dpp v137, v250, v137 quad_perm:[1,1,1,1] row_mask:0xf bank_mask:0xf// 000000015838: 0B1312FA FF0055FA
	v_mul_f32_dpp v138, v250, v138 quad_perm:[2,2,2,2] row_mask:0xf bank_mask:0xf// 000000015840: 0B1514FA FF00AAFA
	v_mul_f32_dpp v139, v250, v139 quad_perm:[3,3,3,3] row_mask:0xf bank_mask:0xf// 000000015848: 0B1716FA FF00FFFA
	v_mul_f32_dpp v140, v251, v140 quad_perm:[0,0,0,0] row_mask:0xf bank_mask:0xf// 000000015850: 0B1918FA FF0000FB
	v_mul_f32_dpp v141, v251, v141 quad_perm:[1,1,1,1] row_mask:0xf bank_mask:0xf// 000000015858: 0B1B1AFA FF0055FB
	v_mul_f32_dpp v142, v251, v142 quad_perm:[2,2,2,2] row_mask:0xf bank_mask:0xf// 000000015860: 0B1D1CFA FF00AAFB
	v_mul_f32_dpp v143, v251, v143 quad_perm:[3,3,3,3] row_mask:0xf bank_mask:0xf// 000000015868: 0B1F1EFA FF00FFFB
	s_and_b32 s60, s72, 0xff                                   // 000000015870: 863CFF48 000000FF
	v_mov_b32_e32 v65, s60                                     // 000000015878: 7E82023C
	v_lshrrev_b32_e32 v240, 4, v0                              // 00000001587C: 21E00084
	v_mul_i32_i24_e32 v240, 4, v240                            // 000000015880: 0DE1E084
	s_mul_i32 s60, s7, 16                                      // 000000015884: 923C9007
	v_add_u32_e32 v240, s60, v240                              // 000000015888: 69E1E03C
	v_add_u32_e32 v241, 1, v240                                // 00000001588C: 69E3E081
	v_add_u32_e32 v242, 2, v240                                // 000000015890: 69E5E082
	v_add_u32_e32 v243, 3, v240                                // 000000015894: 69E7E083
	v_mov_b32_e32 v64, 0xff800000                              // 000000015898: 7E8002FF FF800000
	v_cmp_lt_u32_e64 s[40:41], v240, v65                       // 0000000158A0: D0C90028 000283F0
	v_add_u32_e32 v240, 64, v240                               // 0000000158A8: 69E1E0C0
	s_nop 0                                                    // 0000000158AC: BF800000
	v_cndmask_b32_e64 v128, v64, v128, s[40:41]                // 0000000158B0: D1000080 00A30140
	v_cmp_lt_u32_e64 s[40:41], v241, v65                       // 0000000158B8: D0C90028 000283F1
	v_add_u32_e32 v241, 64, v241                               // 0000000158C0: 69E3E2C0
	s_nop 0                                                    // 0000000158C4: BF800000
	v_cndmask_b32_e64 v129, v64, v129, s[40:41]                // 0000000158C8: D1000081 00A30340
	v_cmp_lt_u32_e64 s[40:41], v242, v65                       // 0000000158D0: D0C90028 000283F2
	v_add_u32_e32 v242, 64, v242                               // 0000000158D8: 69E5E4C0
	s_nop 0                                                    // 0000000158DC: BF800000
	v_cndmask_b32_e64 v130, v64, v130, s[40:41]                // 0000000158E0: D1000082 00A30540
	v_cmp_lt_u32_e64 s[40:41], v243, v65                       // 0000000158E8: D0C90028 000283F3
	v_add_u32_e32 v243, 64, v243                               // 0000000158F0: 69E7E6C0
	s_nop 0                                                    // 0000000158F4: BF800000
	v_cndmask_b32_e64 v131, v64, v131, s[40:41]                // 0000000158F8: D1000083 00A30740
	v_cmp_lt_u32_e64 s[40:41], v240, v65                       // 000000015900: D0C90028 000283F0
	v_add_u32_e32 v240, 64, v240                               // 000000015908: 69E1E0C0
	s_nop 0                                                    // 00000001590C: BF800000
	v_cndmask_b32_e64 v132, v64, v132, s[40:41]                // 000000015910: D1000084 00A30940
	v_cmp_lt_u32_e64 s[40:41], v241, v65                       // 000000015918: D0C90028 000283F1
	v_add_u32_e32 v241, 64, v241                               // 000000015920: 69E3E2C0
	s_nop 0                                                    // 000000015924: BF800000
	v_cndmask_b32_e64 v133, v64, v133, s[40:41]                // 000000015928: D1000085 00A30B40
	v_cmp_lt_u32_e64 s[40:41], v242, v65                       // 000000015930: D0C90028 000283F2
	v_add_u32_e32 v242, 64, v242                               // 000000015938: 69E5E4C0
	s_nop 0                                                    // 00000001593C: BF800000
	v_cndmask_b32_e64 v134, v64, v134, s[40:41]                // 000000015940: D1000086 00A30D40
	v_cmp_lt_u32_e64 s[40:41], v243, v65                       // 000000015948: D0C90028 000283F3
	v_add_u32_e32 v243, 64, v243                               // 000000015950: 69E7E6C0
	s_nop 0                                                    // 000000015954: BF800000
	v_cndmask_b32_e64 v135, v64, v135, s[40:41]                // 000000015958: D1000087 00A30F40
	v_cmp_lt_u32_e64 s[40:41], v240, v65                       // 000000015960: D0C90028 000283F0
	v_add_u32_e32 v240, 64, v240                               // 000000015968: 69E1E0C0
	s_nop 0                                                    // 00000001596C: BF800000
	v_cndmask_b32_e64 v136, v64, v136, s[40:41]                // 000000015970: D1000088 00A31140
	v_cmp_lt_u32_e64 s[40:41], v241, v65                       // 000000015978: D0C90028 000283F1
	v_add_u32_e32 v241, 64, v241                               // 000000015980: 69E3E2C0
	s_nop 0                                                    // 000000015984: BF800000
	v_cndmask_b32_e64 v137, v64, v137, s[40:41]                // 000000015988: D1000089 00A31340
	v_cmp_lt_u32_e64 s[40:41], v242, v65                       // 000000015990: D0C90028 000283F2
	v_add_u32_e32 v242, 64, v242                               // 000000015998: 69E5E4C0
	s_nop 0                                                    // 00000001599C: BF800000
	v_cndmask_b32_e64 v138, v64, v138, s[40:41]                // 0000000159A0: D100008A 00A31540
	v_cmp_lt_u32_e64 s[40:41], v243, v65                       // 0000000159A8: D0C90028 000283F3
	v_add_u32_e32 v243, 64, v243                               // 0000000159B0: 69E7E6C0
	s_nop 0                                                    // 0000000159B4: BF800000
	v_cndmask_b32_e64 v139, v64, v139, s[40:41]                // 0000000159B8: D100008B 00A31740
	v_cmp_lt_u32_e64 s[40:41], v240, v65                       // 0000000159C0: D0C90028 000283F0
	v_add_u32_e32 v240, 64, v240                               // 0000000159C8: 69E1E0C0
	s_nop 0                                                    // 0000000159CC: BF800000
	v_cndmask_b32_e64 v140, v64, v140, s[40:41]                // 0000000159D0: D100008C 00A31940
	v_cmp_lt_u32_e64 s[40:41], v241, v65                       // 0000000159D8: D0C90028 000283F1
	v_add_u32_e32 v241, 64, v241                               // 0000000159E0: 69E3E2C0
	s_nop 0                                                    // 0000000159E4: BF800000
	v_cndmask_b32_e64 v141, v64, v141, s[40:41]                // 0000000159E8: D100008D 00A31B40
	v_cmp_lt_u32_e64 s[40:41], v242, v65                       // 0000000159F0: D0C90028 000283F2
	v_add_u32_e32 v242, 64, v242                               // 0000000159F8: 69E5E4C0
	s_nop 0                                                    // 0000000159FC: BF800000
	v_cndmask_b32_e64 v142, v64, v142, s[40:41]                // 000000015A00: D100008E 00A31D40
	v_cmp_lt_u32_e64 s[40:41], v243, v65                       // 000000015A08: D0C90028 000283F3
	v_add_u32_e32 v243, 64, v243                               // 000000015A10: 69E7E6C0
	s_nop 0                                                    // 000000015A14: BF800000
	v_cndmask_b32_e64 v143, v64, v143, s[40:41]                // 000000015A18: D100008F 00A31F40
	v_mov_b32_e32 v48, v128                                    // 000000015A20: 7E600380
	v_max3_f32 v48, v128, v129, v48                            // 000000015A24: D1D30030 04C30380
	v_max3_f32 v48, v130, v131, v48                            // 000000015A2C: D1D30030 04C30782
	v_max3_f32 v48, v132, v133, v48                            // 000000015A34: D1D30030 04C30B84
	v_max3_f32 v48, v134, v135, v48                            // 000000015A3C: D1D30030 04C30F86
	v_max3_f32 v48, v136, v137, v48                            // 000000015A44: D1D30030 04C31388
	v_max3_f32 v48, v138, v139, v48                            // 000000015A4C: D1D30030 04C3178A
	v_max3_f32 v48, v140, v141, v48                            // 000000015A54: D1D30030 04C31B8C
	v_max3_f32 v48, v142, v143, v48                            // 000000015A5C: D1D30030 04C31F8E
	ds_write_b32 v8, v48 offset:16896                          // 000000015A64: D81A4200 00003008
	v_mul_f32_e32 v216, v50, v216                              // 000000015A6C: 0BB1B132
	v_mul_f32_e32 v217, v50, v217                              // 000000015A70: 0BB3B332
	v_mul_f32_e32 v218, v50, v218                              // 000000015A74: 0BB5B532
	v_mul_f32_e32 v219, v50, v219                              // 000000015A78: 0BB7B732
	v_mul_f32_e32 v220, v50, v220                              // 000000015A7C: 0BB9B932
	v_mul_f32_e32 v221, v50, v221                              // 000000015A80: 0BBBBB32
	v_mul_f32_e32 v222, v50, v222                              // 000000015A84: 0BBDBD32
	v_mul_f32_e32 v223, v50, v223                              // 000000015A88: 0BBFBF32
	s_waitcnt lgkmcnt(0)                                       // 000000015A8C: BF8CC07F
	s_barrier                                                  // 000000015A90: BF8A0000
	ds_read_b32 v64, v7 offset:16896                           // 000000015A94: D86C4200 40000007
	ds_read_b32 v65, v7 offset:16960                           // 000000015A9C: D86C4240 41000007
	ds_read_b32 v66, v7 offset:17024                           // 000000015AA4: D86C4280 42000007
	ds_read_b32 v67, v7 offset:17088                           // 000000015AAC: D86C42C0 43000007
	ds_read_b32 v68, v7 offset:17152                           // 000000015AB4: D86C4300 44000007
	ds_read_b32 v69, v7 offset:17216                           // 000000015ABC: D86C4340 45000007
	ds_read_b32 v70, v7 offset:17280                           // 000000015AC4: D86C4380 46000007
	ds_read_b32 v71, v7 offset:17344                           // 000000015ACC: D86C43C0 47000007
	ds_read_b32 v72, v7 offset:17408                           // 000000015AD4: D86C4400 48000007
	ds_read_b32 v73, v7 offset:17472                           // 000000015ADC: D86C4440 49000007
	ds_read_b32 v74, v7 offset:17536                           // 000000015AE4: D86C4480 4A000007
	ds_read_b32 v75, v7 offset:17600                           // 000000015AEC: D86C44C0 4B000007
	ds_read_b32 v76, v7 offset:17664                           // 000000015AF4: D86C4500 4C000007
	ds_read_b32 v77, v7 offset:17728                           // 000000015AFC: D86C4540 4D000007
	ds_read_b32 v78, v7 offset:17792                           // 000000015B04: D86C4580 4E000007
	ds_read_b32 v79, v7 offset:17856                           // 000000015B0C: D86C45C0 4F000007
	v_mul_f32_e32 v184, v45, v184                              // 000000015B14: 0B71712D
	v_mul_f32_e32 v185, v45, v185                              // 000000015B18: 0B73732D
	v_mul_f32_e32 v186, v45, v186                              // 000000015B1C: 0B75752D
	v_mul_f32_e32 v187, v45, v187                              // 000000015B20: 0B77772D
	v_mul_f32_e32 v188, v45, v188                              // 000000015B24: 0B79792D
	v_mul_f32_e32 v189, v45, v189                              // 000000015B28: 0B7B7B2D
	v_mul_f32_e32 v190, v45, v190                              // 000000015B2C: 0B7D7D2D
	v_mul_f32_e32 v191, v45, v191                              // 000000015B30: 0B7F7F2D
	s_waitcnt lgkmcnt(0)                                       // 000000015B34: BF8CC07F
	v_max3_f32 v48, v64, v65, v48                              // 000000015B38: D1D30030 04C28340
	v_max3_f32 v48, v66, v67, v48                              // 000000015B40: D1D30030 04C28742
	v_max3_f32 v48, v68, v69, v48                              // 000000015B48: D1D30030 04C28B44
	v_max3_f32 v48, v70, v71, v48                              // 000000015B50: D1D30030 04C28F46
	v_max3_f32 v48, v72, v73, v48                              // 000000015B58: D1D30030 04C29348
	v_max3_f32 v48, v74, v75, v48                              // 000000015B60: D1D30030 04C2974A
	v_max3_f32 v48, v76, v77, v48                              // 000000015B68: D1D30030 04C29B4C
	v_max3_f32 v48, v78, v79, v48                              // 000000015B70: D1D30030 04C29F4E
	v_mov_b32_e32 v64, 0xff800000                              // 000000015B78: 7E8002FF FF800000
	v_cmp_eq_u32_e64 s[40:41], v64, v12                        // 000000015B80: D0CA0028 00021940
	s_nop 1                                                    // 000000015B88: BF800001
	v_max_f32_e32 v15, v48, v12                                // 000000015B8C: 161E1930
	v_mul_f32_e32 v53, s64, v15                                // 000000015B90: 0A6A1E40
	v_fma_f32 v128, v128, s64, -v53                            // 000000015B94: D1CB0080 84D48180
	v_fma_f32 v129, v129, s64, -v53                            // 000000015B9C: D1CB0081 84D48181
	v_fma_f32 v130, v130, s64, -v53                            // 000000015BA4: D1CB0082 84D48182
	v_fma_f32 v131, v131, s64, -v53                            // 000000015BAC: D1CB0083 84D48183
	v_fma_f32 v132, v132, s64, -v53                            // 000000015BB4: D1CB0084 84D48184
	v_fma_f32 v133, v133, s64, -v53                            // 000000015BBC: D1CB0085 84D48185
	v_fma_f32 v134, v134, s64, -v53                            // 000000015BC4: D1CB0086 84D48186
	v_fma_f32 v135, v135, s64, -v53                            // 000000015BCC: D1CB0087 84D48187
	v_fma_f32 v136, v136, s64, -v53                            // 000000015BD4: D1CB0088 84D48188
	v_fma_f32 v137, v137, s64, -v53                            // 000000015BDC: D1CB0089 84D48189
	v_fma_f32 v138, v138, s64, -v53                            // 000000015BE4: D1CB008A 84D4818A
	v_fma_f32 v139, v139, s64, -v53                            // 000000015BEC: D1CB008B 84D4818B
	v_fma_f32 v140, v140, s64, -v53                            // 000000015BF4: D1CB008C 84D4818C
	v_fma_f32 v141, v141, s64, -v53                            // 000000015BFC: D1CB008D 84D4818D
	v_fma_f32 v142, v142, s64, -v53                            // 000000015C04: D1CB008E 84D4818E
	v_fma_f32 v143, v143, s64, -v53                            // 000000015C0C: D1CB008F 84D4818F
	v_exp_f32_e32 v128, v128                                   // 000000015C14: 7F004180
	v_exp_f32_e32 v129, v129                                   // 000000015C18: 7F024181
	v_exp_f32_e32 v130, v130                                   // 000000015C1C: 7F044182
	v_exp_f32_e32 v131, v131                                   // 000000015C20: 7F064183
	v_exp_f32_e32 v132, v132                                   // 000000015C24: 7F084184
	v_exp_f32_e32 v133, v133                                   // 000000015C28: 7F0A4185
	v_exp_f32_e32 v134, v134                                   // 000000015C2C: 7F0C4186
	v_exp_f32_e32 v135, v135                                   // 000000015C30: 7F0E4187
	v_exp_f32_e32 v136, v136                                   // 000000015C34: 7F104188
	v_exp_f32_e32 v137, v137                                   // 000000015C38: 7F124189
	v_exp_f32_e32 v138, v138                                   // 000000015C3C: 7F14418A
	v_exp_f32_e32 v139, v139                                   // 000000015C40: 7F16418B
	v_exp_f32_e32 v140, v140                                   // 000000015C44: 7F18418C
	v_exp_f32_e32 v141, v141                                   // 000000015C48: 7F1A418D
	v_exp_f32_e32 v142, v142                                   // 000000015C4C: 7F1C418E
	v_exp_f32_e32 v143, v143                                   // 000000015C50: 7F1E418F
	v_mul_f32_dpp v240, v252, v128 quad_perm:[0,0,0,0] row_mask:0xf bank_mask:0xf// 000000015C54: 0BE100FA FF0000FC
	v_mul_f32_dpp v241, v252, v129 quad_perm:[1,1,1,1] row_mask:0xf bank_mask:0xf// 000000015C5C: 0BE302FA FF0055FC
	v_mul_f32_dpp v242, v252, v130 quad_perm:[2,2,2,2] row_mask:0xf bank_mask:0xf// 000000015C64: 0BE504FA FF00AAFC
	v_mul_f32_dpp v243, v252, v131 quad_perm:[3,3,3,3] row_mask:0xf bank_mask:0xf// 000000015C6C: 0BE706FA FF00FFFC
	v_mul_f32_dpp v244, v253, v132 quad_perm:[0,0,0,0] row_mask:0xf bank_mask:0xf// 000000015C74: 0BE908FA FF0000FD
	v_mul_f32_dpp v245, v253, v133 quad_perm:[1,1,1,1] row_mask:0xf bank_mask:0xf// 000000015C7C: 0BEB0AFA FF0055FD
	v_mul_f32_dpp v246, v253, v134 quad_perm:[2,2,2,2] row_mask:0xf bank_mask:0xf// 000000015C84: 0BED0CFA FF00AAFD
	v_mul_f32_dpp v247, v253, v135 quad_perm:[3,3,3,3] row_mask:0xf bank_mask:0xf// 000000015C8C: 0BEF0EFA FF00FFFD
	v_mul_f32_dpp v248, v254, v136 quad_perm:[0,0,0,0] row_mask:0xf bank_mask:0xf// 000000015C94: 0BF110FA FF0000FE
	v_mul_f32_dpp v249, v254, v137 quad_perm:[1,1,1,1] row_mask:0xf bank_mask:0xf// 000000015C9C: 0BF312FA FF0055FE
	v_mul_f32_dpp v250, v254, v138 quad_perm:[2,2,2,2] row_mask:0xf bank_mask:0xf// 000000015CA4: 0BF514FA FF00AAFE
	v_mul_f32_dpp v251, v254, v139 quad_perm:[3,3,3,3] row_mask:0xf bank_mask:0xf// 000000015CAC: 0BF716FA FF00FFFE
	v_mul_f32_dpp v252, v255, v140 quad_perm:[0,0,0,0] row_mask:0xf bank_mask:0xf// 000000015CB4: 0BF918FA FF0000FF
	v_mul_f32_dpp v253, v255, v141 quad_perm:[1,1,1,1] row_mask:0xf bank_mask:0xf// 000000015CBC: 0BFB1AFA FF0055FF
	v_mul_f32_dpp v254, v255, v142 quad_perm:[2,2,2,2] row_mask:0xf bank_mask:0xf// 000000015CC4: 0BFD1CFA FF00AAFF
	v_mul_f32_dpp v255, v255, v143 quad_perm:[3,3,3,3] row_mask:0xf bank_mask:0xf// 000000015CCC: 0BFF1EFA FF00FFFF
	v_mov_b32_e32 v48, 0x358637bd                              // 000000015CD4: 7E6002FF 358637BD
	v_max3_f32 v48, |v240|, |v241|, v48                        // 000000015CDC: D1D30330 04C3E3F0
	v_max3_f32 v48, |v242|, |v243|, v48                        // 000000015CE4: D1D30330 04C3E7F2
	v_max3_f32 v48, |v244|, |v245|, v48                        // 000000015CEC: D1D30330 04C3EBF4
	v_max3_f32 v48, |v246|, |v247|, v48                        // 000000015CF4: D1D30330 04C3EFF6
	v_max3_f32 v48, |v248|, |v249|, v48                        // 000000015CFC: D1D30330 04C3F3F8
	v_max3_f32 v48, |v250|, |v251|, v48                        // 000000015D04: D1D30330 04C3F7FA
	v_max3_f32 v48, |v252|, |v253|, v48                        // 000000015D0C: D1D30330 04C3FBFC
	v_max3_f32 v48, |v254|, |v255|, v48                        // 000000015D14: D1D30330 04C3FFFE
	ds_write_b32 v8, v48 offset:20992                          // 000000015D1C: D81A5200 00003008
	v_sub_f32_e32 v50, v12, v15                                // 000000015D24: 04641F0C
	v_cndmask_b32_e64 v50, v50, 0, s[40:41]                    // 000000015D28: D1000032 00A10132
	v_mov_b32_e32 v12, v15                                     // 000000015D30: 7E18030F
	v_mul_f32_e32 v50, s64, v50                                // 000000015D34: 0A646440
	v_exp_f32_e32 v50, v50                                     // 000000015D38: 7E644132
	s_waitcnt lgkmcnt(0)                                       // 000000015D3C: BF8CC07F
	s_barrier                                                  // 000000015D40: BF8A0000
	ds_read_b32 v64, v7 offset:20992                           // 000000015D44: D86C5200 40000007
	ds_read_b32 v65, v7 offset:21056                           // 000000015D4C: D86C5240 41000007
	ds_read_b32 v66, v7 offset:21120                           // 000000015D54: D86C5280 42000007
	ds_read_b32 v67, v7 offset:21184                           // 000000015D5C: D86C52C0 43000007
	ds_read_b32 v68, v7 offset:21248                           // 000000015D64: D86C5300 44000007
	ds_read_b32 v69, v7 offset:21312                           // 000000015D6C: D86C5340 45000007
	ds_read_b32 v70, v7 offset:21376                           // 000000015D74: D86C5380 46000007
	ds_read_b32 v71, v7 offset:21440                           // 000000015D7C: D86C53C0 47000007
	ds_read_b32 v72, v7 offset:21504                           // 000000015D84: D86C5400 48000007
	ds_read_b32 v73, v7 offset:21568                           // 000000015D8C: D86C5440 49000007
	ds_read_b32 v74, v7 offset:21632                           // 000000015D94: D86C5480 4A000007
	ds_read_b32 v75, v7 offset:21696                           // 000000015D9C: D86C54C0 4B000007
	ds_read_b32 v76, v7 offset:21760                           // 000000015DA4: D86C5500 4C000007
	ds_read_b32 v77, v7 offset:21824                           // 000000015DAC: D86C5540 4D000007
	ds_read_b32 v78, v7 offset:21888                           // 000000015DB4: D86C5580 4E000007
	ds_read_b32 v79, v7 offset:21952                           // 000000015DBC: D86C55C0 4F000007
	v_mul_f32_e32 v39, v50, v39                                // 000000015DC4: 0A4E4F32
	v_mov_b32_e32 v15, v128                                    // 000000015DC8: 7E1E0380
	v_add_f32_e32 v15, v129, v15                               // 000000015DCC: 021E1F81
	v_add_f32_e32 v15, v130, v15                               // 000000015DD0: 021E1F82
	v_add_f32_e32 v15, v131, v15                               // 000000015DD4: 021E1F83
	v_add_f32_e32 v15, v132, v15                               // 000000015DD8: 021E1F84
	v_add_f32_e32 v15, v133, v15                               // 000000015DDC: 021E1F85
	v_add_f32_e32 v15, v134, v15                               // 000000015DE0: 021E1F86
	v_add_f32_e32 v15, v135, v15                               // 000000015DE4: 021E1F87
	v_add_f32_e32 v15, v136, v15                               // 000000015DE8: 021E1F88
	v_add_f32_e32 v15, v137, v15                               // 000000015DEC: 021E1F89
	v_add_f32_e32 v15, v138, v15                               // 000000015DF0: 021E1F8A
	v_add_f32_e32 v15, v139, v15                               // 000000015DF4: 021E1F8B
	v_add_f32_e32 v15, v140, v15                               // 000000015DF8: 021E1F8C
	v_add_f32_e32 v15, v141, v15                               // 000000015DFC: 021E1F8D
	v_add_f32_e32 v15, v142, v15                               // 000000015E00: 021E1F8E
	v_add_f32_e32 v15, v143, v15                               // 000000015E04: 021E1F8F
	v_add_f32_e32 v39, v15, v39                                // 000000015E08: 024E4F0F
	s_waitcnt lgkmcnt(0)                                       // 000000015E0C: BF8CC07F
	v_max3_f32 v48, |v64|, |v65|, v48                          // 000000015E10: D1D30330 04C28340
	v_max3_f32 v48, |v66|, |v67|, v48                          // 000000015E18: D1D30330 04C28742
	v_max3_f32 v48, |v68|, |v69|, v48                          // 000000015E20: D1D30330 04C28B44
	v_max3_f32 v48, |v70|, |v71|, v48                          // 000000015E28: D1D30330 04C28F46
	v_max3_f32 v48, |v72|, |v73|, v48                          // 000000015E30: D1D30330 04C29348
	v_max3_f32 v48, |v74|, |v75|, v48                          // 000000015E38: D1D30330 04C2974A
	v_max3_f32 v48, |v76|, |v77|, v48                          // 000000015E40: D1D30330 04C29B4C
	v_max3_f32 v48, |v78|, |v79|, v48                          // 000000015E48: D1D30330 04C29F4E
	s_nop 2                                                    // 000000015E50: BF800002
	v_rcp_f32_e32 v48, v48                                     // 000000015E54: 7E604530
	s_nop 1                                                    // 000000015E58: BF800001
	v_mul_f32_e32 v48, 0x43e00000, v48                         // 000000015E5C: 0A6060FF 43E00000
	v_mul_f32_e32 v128, v48, v240                              // 000000015E64: 0B01E130
	v_mul_f32_e32 v129, v48, v241                              // 000000015E68: 0B03E330
	v_mul_f32_e32 v130, v48, v242                              // 000000015E6C: 0B05E530
	v_mul_f32_e32 v131, v48, v243                              // 000000015E70: 0B07E730
	v_mul_f32_e32 v132, v48, v244                              // 000000015E74: 0B09E930
	v_mul_f32_e32 v133, v48, v245                              // 000000015E78: 0B0BEB30
	v_mul_f32_e32 v134, v48, v246                              // 000000015E7C: 0B0DED30
	v_mul_f32_e32 v135, v48, v247                              // 000000015E80: 0B0FEF30
	v_mul_f32_e32 v136, v48, v248                              // 000000015E84: 0B11F130
	v_mul_f32_e32 v137, v48, v249                              // 000000015E88: 0B13F330
	v_mul_f32_e32 v138, v48, v250                              // 000000015E8C: 0B15F530
	v_mul_f32_e32 v139, v48, v251                              // 000000015E90: 0B17F730
	v_mul_f32_e32 v140, v48, v252                              // 000000015E94: 0B19F930
	v_mul_f32_e32 v141, v48, v253                              // 000000015E98: 0B1BFB30
	v_mul_f32_e32 v142, v48, v254                              // 000000015E9C: 0B1DFD30
	v_mul_f32_e32 v143, v48, v255                              // 000000015EA0: 0B1FFF30
	v_cvt_pk_fp8_f32 v128, v128, v129                          // 000000015EA4: D2A20080 00030380
	v_cvt_pk_fp8_f32 v128, v130, v131 op_sel:[0,0,1]           // 000000015EAC: D2A24080 00030782
	v_cvt_pk_fp8_f32 v129, v132, v133                          // 000000015EB4: D2A20081 00030B84
	v_cvt_pk_fp8_f32 v129, v134, v135 op_sel:[0,0,1]           // 000000015EBC: D2A24081 00030F86
	v_cvt_pk_fp8_f32 v130, v136, v137                          // 000000015EC4: D2A20082 00031388
	v_cvt_pk_fp8_f32 v130, v138, v139 op_sel:[0,0,1]           // 000000015ECC: D2A24082 0003178A
	v_cvt_pk_fp8_f32 v131, v140, v141                          // 000000015ED4: D2A20083 00031B8C
	v_cvt_pk_fp8_f32 v131, v142, v143 op_sel:[0,0,1]           // 000000015EDC: D2A24083 00031F8E
	ds_write_b32 v10, v128 offset:29184                        // 000000015EE4: D81A7200 0000800A
	ds_write_b32 v10, v129 offset:30208                        // 000000015EEC: D81A7600 0000810A
	ds_write_b32 v10, v130 offset:31232                        // 000000015EF4: D81A7A00 0000820A
	ds_write_b32 v10, v131 offset:32256                        // 000000015EFC: D81A7E00 0000830A
	v_add_f32_e32 v216, v216, v184                             // 000000015F04: 03B171D8
	v_add_f32_e32 v217, v217, v185                             // 000000015F08: 03B373D9
	v_add_f32_e32 v218, v218, v186                             // 000000015F0C: 03B575DA
	v_add_f32_e32 v219, v219, v187                             // 000000015F10: 03B777DB
	v_add_f32_e32 v220, v220, v188                             // 000000015F14: 03B979DC
	v_add_f32_e32 v221, v221, v189                             // 000000015F18: 03BB7BDD
	v_add_f32_e32 v222, v222, v190                             // 000000015F1C: 03BD7DDE
	v_add_f32_e32 v223, v223, v191                             // 000000015F20: 03BF7FDF
	v_rcp_f32_e32 v45, v48                                     // 000000015F24: 7E5A4530
	s_waitcnt lgkmcnt(0)                                       // 000000015F28: BF8CC07F
	s_barrier                                                  // 000000015F2C: BF8A0000
	ds_read_b64 v[128:129], v9 offset:29184                    // 000000015F30: D8EC7200 80000009
	ds_read_b64 v[130:131], v9 offset:29312                    // 000000015F38: D8EC7280 82000009
	ds_read_b64 v[132:133], v9 offset:30208                    // 000000015F40: D8EC7600 84000009
	ds_read_b64 v[134:135], v9 offset:30336                    // 000000015F48: D8EC7680 86000009
	ds_read_b64 v[136:137], v9 offset:31232                    // 000000015F50: D8EC7A00 88000009
	ds_read_b64 v[138:139], v9 offset:31360                    // 000000015F58: D8EC7A80 8A000009
	ds_read_b64 v[140:141], v9 offset:32256                    // 000000015F60: D8EC7E00 8C000009
	ds_read_b64 v[142:143], v9 offset:32384                    // 000000015F68: D8EC7E80 8E000009
	v_mov_b32_dpp v64, v42 row_shr:4 row_mask:0xf bank_mask:0xf// 000000015F70: 7E8002FA FF01142A
	v_mov_b32_dpp v65, v42 row_shl:4 row_mask:0xf bank_mask:0xf// 000000015F78: 7E8202FA FF01042A
	v_cndmask_b32_e64 v248, v42, v64, s[44:45]                 // 000000015F80: D10000F8 00B2812A
	v_cndmask_b32_e64 v249, v65, v42, s[44:45]                 // 000000015F88: D10000F9 00B25541
	v_mov_b32_dpp v64, v248 row_shr:8 row_mask:0xf bank_mask:0xf// 000000015F90: 7E8002FA FF0118F8
	v_mov_b32_dpp v65, v248 row_shl:8 row_mask:0xf bank_mask:0xf// 000000015F98: 7E8202FA FF0108F8
	v_mov_b32_dpp v66, v249 row_shr:8 row_mask:0xf bank_mask:0xf// 000000015FA0: 7E8402FA FF0118F9
	v_mov_b32_dpp v67, v249 row_shl:8 row_mask:0xf bank_mask:0xf// 000000015FA8: 7E8602FA FF0108F9
	v_mov_b32_e32 v68, v248                                    // 000000015FB0: 7E8803F8
	v_mov_b32_e32 v69, v249                                    // 000000015FB4: 7E8A03F9
	v_cndmask_b32_e64 v248, v68, v64, s[42:43]                 // 000000015FB8: D10000F8 00AA8144
	v_cndmask_b32_e64 v250, v68, v65, s[78:79]                 // 000000015FC0: D10000FA 013A8344
	v_cndmask_b32_e64 v249, v69, v66, s[42:43]                 // 000000015FC8: D10000F9 00AA8545
	v_cndmask_b32_e64 v251, v69, v67, s[78:79]                 // 000000015FD0: D10000FB 013A8745
	v_mov_b32_dpp v64, v57 row_shr:4 row_mask:0xf bank_mask:0xf// 000000015FD8: 7E8002FA FF011439
	v_mov_b32_dpp v65, v57 row_shl:4 row_mask:0xf bank_mask:0xf// 000000015FE0: 7E8202FA FF010439
	v_cndmask_b32_e64 v252, v57, v64, s[44:45]                 // 000000015FE8: D10000FC 00B28139
	v_cndmask_b32_e64 v253, v65, v57, s[44:45]                 // 000000015FF0: D10000FD 00B27341
	v_mov_b32_dpp v64, v252 row_shr:8 row_mask:0xf bank_mask:0xf// 000000015FF8: 7E8002FA FF0118FC
	v_mov_b32_dpp v65, v252 row_shl:8 row_mask:0xf bank_mask:0xf// 000000016000: 7E8202FA FF0108FC
	v_mov_b32_dpp v66, v253 row_shr:8 row_mask:0xf bank_mask:0xf// 000000016008: 7E8402FA FF0118FD
	v_mov_b32_dpp v67, v253 row_shl:8 row_mask:0xf bank_mask:0xf// 000000016010: 7E8602FA FF0108FD
	v_mov_b32_e32 v68, v252                                    // 000000016018: 7E8803FC
	v_mov_b32_e32 v69, v253                                    // 00000001601C: 7E8A03FD
	v_cndmask_b32_e64 v252, v68, v64, s[42:43]                 // 000000016020: D10000FC 00AA8144
	v_cndmask_b32_e64 v254, v68, v65, s[78:79]                 // 000000016028: D10000FE 013A8344
	v_cndmask_b32_e64 v253, v69, v66, s[42:43]                 // 000000016030: D10000FD 00AA8545
	v_cndmask_b32_e64 v255, v69, v67, s[78:79]                 // 000000016038: D10000FF 013A8745
	v_mul_f32_e32 v144, v20, v144                              // 000000016040: 0B212114
	v_mul_f32_e32 v145, v20, v145                              // 000000016044: 0B232314
	v_mul_f32_e32 v146, v20, v146                              // 000000016048: 0B252514
	v_mul_f32_e32 v147, v20, v147                              // 00000001604C: 0B272714
	v_mul_f32_e32 v148, v20, v148                              // 000000016050: 0B292914
	v_mul_f32_e32 v149, v20, v149                              // 000000016054: 0B2B2B14
	v_mul_f32_e32 v150, v20, v150                              // 000000016058: 0B2D2D14
	v_mul_f32_e32 v151, v20, v151                              // 00000001605C: 0B2F2F14
	v_mul_f32_e32 v152, v20, v152                              // 000000016060: 0B313114
	v_mul_f32_e32 v153, v20, v153                              // 000000016064: 0B333314
	v_mul_f32_e32 v154, v20, v154                              // 000000016068: 0B353514
	v_mul_f32_e32 v155, v20, v155                              // 00000001606C: 0B373714
	v_mul_f32_e32 v156, v20, v156                              // 000000016070: 0B393914
	v_mul_f32_e32 v157, v20, v157                              // 000000016074: 0B3B3B14
	v_mul_f32_e32 v158, v20, v158                              // 000000016078: 0B3D3D14
	v_mul_f32_e32 v159, v20, v159                              // 00000001607C: 0B3F3F14
	v_mul_f32_dpp v144, v248, v144 quad_perm:[0,0,0,0] row_mask:0xf bank_mask:0xf// 000000016080: 0B2120FA FF0000F8
	v_mul_f32_dpp v145, v248, v145 quad_perm:[1,1,1,1] row_mask:0xf bank_mask:0xf// 000000016088: 0B2322FA FF0055F8
	v_mul_f32_dpp v146, v248, v146 quad_perm:[2,2,2,2] row_mask:0xf bank_mask:0xf// 000000016090: 0B2524FA FF00AAF8
	v_mul_f32_dpp v147, v248, v147 quad_perm:[3,3,3,3] row_mask:0xf bank_mask:0xf// 000000016098: 0B2726FA FF00FFF8
	v_mul_f32_dpp v148, v249, v148 quad_perm:[0,0,0,0] row_mask:0xf bank_mask:0xf// 0000000160A0: 0B2928FA FF0000F9
	v_mul_f32_dpp v149, v249, v149 quad_perm:[1,1,1,1] row_mask:0xf bank_mask:0xf// 0000000160A8: 0B2B2AFA FF0055F9
	v_mul_f32_dpp v150, v249, v150 quad_perm:[2,2,2,2] row_mask:0xf bank_mask:0xf// 0000000160B0: 0B2D2CFA FF00AAF9
	v_mul_f32_dpp v151, v249, v151 quad_perm:[3,3,3,3] row_mask:0xf bank_mask:0xf// 0000000160B8: 0B2F2EFA FF00FFF9
	v_mul_f32_dpp v152, v250, v152 quad_perm:[0,0,0,0] row_mask:0xf bank_mask:0xf// 0000000160C0: 0B3130FA FF0000FA
	v_mul_f32_dpp v153, v250, v153 quad_perm:[1,1,1,1] row_mask:0xf bank_mask:0xf// 0000000160C8: 0B3332FA FF0055FA
	v_mul_f32_dpp v154, v250, v154 quad_perm:[2,2,2,2] row_mask:0xf bank_mask:0xf// 0000000160D0: 0B3534FA FF00AAFA
	v_mul_f32_dpp v155, v250, v155 quad_perm:[3,3,3,3] row_mask:0xf bank_mask:0xf// 0000000160D8: 0B3736FA FF00FFFA
	v_mul_f32_dpp v156, v251, v156 quad_perm:[0,0,0,0] row_mask:0xf bank_mask:0xf// 0000000160E0: 0B3938FA FF0000FB
	v_mul_f32_dpp v157, v251, v157 quad_perm:[1,1,1,1] row_mask:0xf bank_mask:0xf// 0000000160E8: 0B3B3AFA FF0055FB
	v_mul_f32_dpp v158, v251, v158 quad_perm:[2,2,2,2] row_mask:0xf bank_mask:0xf// 0000000160F0: 0B3D3CFA FF00AAFB
	v_mul_f32_dpp v159, v251, v159 quad_perm:[3,3,3,3] row_mask:0xf bank_mask:0xf// 0000000160F8: 0B3F3EFA FF00FFFB
	s_and_b32 s60, s72, 0xff                                   // 000000016100: 863CFF48 000000FF
	v_mov_b32_e32 v65, s60                                     // 000000016108: 7E82023C
	v_lshrrev_b32_e32 v240, 4, v0                              // 00000001610C: 21E00084
	v_mul_i32_i24_e32 v240, 4, v240                            // 000000016110: 0DE1E084
	s_mul_i32 s60, s7, 16                                      // 000000016114: 923C9007
	v_add_u32_e32 v240, s60, v240                              // 000000016118: 69E1E03C
	v_add_u32_e32 v241, 1, v240                                // 00000001611C: 69E3E081
	v_add_u32_e32 v242, 2, v240                                // 000000016120: 69E5E082
	v_add_u32_e32 v243, 3, v240                                // 000000016124: 69E7E083
	v_mov_b32_e32 v64, 0xff800000                              // 000000016128: 7E8002FF FF800000
	v_cmp_lt_u32_e64 s[40:41], v240, v65                       // 000000016130: D0C90028 000283F0
	v_add_u32_e32 v240, 64, v240                               // 000000016138: 69E1E0C0
	s_nop 0                                                    // 00000001613C: BF800000
	v_cndmask_b32_e64 v144, v64, v144, s[40:41]                // 000000016140: D1000090 00A32140
	v_cmp_lt_u32_e64 s[40:41], v241, v65                       // 000000016148: D0C90028 000283F1
	v_add_u32_e32 v241, 64, v241                               // 000000016150: 69E3E2C0
	s_nop 0                                                    // 000000016154: BF800000
	v_cndmask_b32_e64 v145, v64, v145, s[40:41]                // 000000016158: D1000091 00A32340
	v_cmp_lt_u32_e64 s[40:41], v242, v65                       // 000000016160: D0C90028 000283F2
	v_add_u32_e32 v242, 64, v242                               // 000000016168: 69E5E4C0
	s_nop 0                                                    // 00000001616C: BF800000
	v_cndmask_b32_e64 v146, v64, v146, s[40:41]                // 000000016170: D1000092 00A32540
	v_cmp_lt_u32_e64 s[40:41], v243, v65                       // 000000016178: D0C90028 000283F3
	v_add_u32_e32 v243, 64, v243                               // 000000016180: 69E7E6C0
	s_nop 0                                                    // 000000016184: BF800000
	v_cndmask_b32_e64 v147, v64, v147, s[40:41]                // 000000016188: D1000093 00A32740
	v_cmp_lt_u32_e64 s[40:41], v240, v65                       // 000000016190: D0C90028 000283F0
	v_add_u32_e32 v240, 64, v240                               // 000000016198: 69E1E0C0
	s_nop 0                                                    // 00000001619C: BF800000
	v_cndmask_b32_e64 v148, v64, v148, s[40:41]                // 0000000161A0: D1000094 00A32940
	v_cmp_lt_u32_e64 s[40:41], v241, v65                       // 0000000161A8: D0C90028 000283F1
	v_add_u32_e32 v241, 64, v241                               // 0000000161B0: 69E3E2C0
	s_nop 0                                                    // 0000000161B4: BF800000
	v_cndmask_b32_e64 v149, v64, v149, s[40:41]                // 0000000161B8: D1000095 00A32B40
	v_cmp_lt_u32_e64 s[40:41], v242, v65                       // 0000000161C0: D0C90028 000283F2
	v_add_u32_e32 v242, 64, v242                               // 0000000161C8: 69E5E4C0
	s_nop 0                                                    // 0000000161CC: BF800000
	v_cndmask_b32_e64 v150, v64, v150, s[40:41]                // 0000000161D0: D1000096 00A32D40
	v_cmp_lt_u32_e64 s[40:41], v243, v65                       // 0000000161D8: D0C90028 000283F3
	v_add_u32_e32 v243, 64, v243                               // 0000000161E0: 69E7E6C0
	s_nop 0                                                    // 0000000161E4: BF800000
	v_cndmask_b32_e64 v151, v64, v151, s[40:41]                // 0000000161E8: D1000097 00A32F40
	v_cmp_lt_u32_e64 s[40:41], v240, v65                       // 0000000161F0: D0C90028 000283F0
	v_add_u32_e32 v240, 64, v240                               // 0000000161F8: 69E1E0C0
	s_nop 0                                                    // 0000000161FC: BF800000
	v_cndmask_b32_e64 v152, v64, v152, s[40:41]                // 000000016200: D1000098 00A33140
	v_cmp_lt_u32_e64 s[40:41], v241, v65                       // 000000016208: D0C90028 000283F1
	v_add_u32_e32 v241, 64, v241                               // 000000016210: 69E3E2C0
	s_nop 0                                                    // 000000016214: BF800000
	v_cndmask_b32_e64 v153, v64, v153, s[40:41]                // 000000016218: D1000099 00A33340
	v_cmp_lt_u32_e64 s[40:41], v242, v65                       // 000000016220: D0C90028 000283F2
	v_add_u32_e32 v242, 64, v242                               // 000000016228: 69E5E4C0
	s_nop 0                                                    // 00000001622C: BF800000
	v_cndmask_b32_e64 v154, v64, v154, s[40:41]                // 000000016230: D100009A 00A33540
	v_cmp_lt_u32_e64 s[40:41], v243, v65                       // 000000016238: D0C90028 000283F3
	v_add_u32_e32 v243, 64, v243                               // 000000016240: 69E7E6C0
	s_nop 0                                                    // 000000016244: BF800000
	v_cndmask_b32_e64 v155, v64, v155, s[40:41]                // 000000016248: D100009B 00A33740
	v_cmp_lt_u32_e64 s[40:41], v240, v65                       // 000000016250: D0C90028 000283F0
	v_add_u32_e32 v240, 64, v240                               // 000000016258: 69E1E0C0
	s_nop 0                                                    // 00000001625C: BF800000
	v_cndmask_b32_e64 v156, v64, v156, s[40:41]                // 000000016260: D100009C 00A33940
	v_cmp_lt_u32_e64 s[40:41], v241, v65                       // 000000016268: D0C90028 000283F1
	v_add_u32_e32 v241, 64, v241                               // 000000016270: 69E3E2C0
	s_nop 0                                                    // 000000016274: BF800000
	v_cndmask_b32_e64 v157, v64, v157, s[40:41]                // 000000016278: D100009D 00A33B40
	v_cmp_lt_u32_e64 s[40:41], v242, v65                       // 000000016280: D0C90028 000283F2
	v_add_u32_e32 v242, 64, v242                               // 000000016288: 69E5E4C0
	s_nop 0                                                    // 00000001628C: BF800000
	v_cndmask_b32_e64 v158, v64, v158, s[40:41]                // 000000016290: D100009E 00A33D40
	v_cmp_lt_u32_e64 s[40:41], v243, v65                       // 000000016298: D0C90028 000283F3
	v_add_u32_e32 v243, 64, v243                               // 0000000162A0: 69E7E6C0
	s_nop 0                                                    // 0000000162A4: BF800000
	v_cndmask_b32_e64 v159, v64, v159, s[40:41]                // 0000000162A8: D100009F 00A33F40
	v_mov_b32_e32 v48, v144                                    // 0000000162B0: 7E600390
	v_max3_f32 v48, v144, v145, v48                            // 0000000162B4: D1D30030 04C32390
	v_max3_f32 v48, v146, v147, v48                            // 0000000162BC: D1D30030 04C32792
	v_max3_f32 v48, v148, v149, v48                            // 0000000162C4: D1D30030 04C32B94
	v_max3_f32 v48, v150, v151, v48                            // 0000000162CC: D1D30030 04C32F96
	v_max3_f32 v48, v152, v153, v48                            // 0000000162D4: D1D30030 04C33398
	v_max3_f32 v48, v154, v155, v48                            // 0000000162DC: D1D30030 04C3379A
	v_max3_f32 v48, v156, v157, v48                            // 0000000162E4: D1D30030 04C33B9C
	v_max3_f32 v48, v158, v159, v48                            // 0000000162EC: D1D30030 04C33F9E
	ds_write_b32 v8, v48 offset:16896                          // 0000000162F4: D81A4200 00003008
	v_mul_f32_e32 v224, v51, v224                              // 0000000162FC: 0BC1C133
	v_mul_f32_e32 v225, v51, v225                              // 000000016300: 0BC3C333
	v_mul_f32_e32 v226, v51, v226                              // 000000016304: 0BC5C533
	v_mul_f32_e32 v227, v51, v227                              // 000000016308: 0BC7C733
	v_mul_f32_e32 v228, v51, v228                              // 00000001630C: 0BC9C933
	v_mul_f32_e32 v229, v51, v229                              // 000000016310: 0BCBCB33
	v_mul_f32_e32 v230, v51, v230                              // 000000016314: 0BCDCD33
	v_mul_f32_e32 v231, v51, v231                              // 000000016318: 0BCFCF33
	s_waitcnt lgkmcnt(0)                                       // 00000001631C: BF8CC07F
	s_barrier                                                  // 000000016320: BF8A0000
	ds_read_b32 v64, v7 offset:16896                           // 000000016324: D86C4200 40000007
	ds_read_b32 v65, v7 offset:16960                           // 00000001632C: D86C4240 41000007
	ds_read_b32 v66, v7 offset:17024                           // 000000016334: D86C4280 42000007
	ds_read_b32 v67, v7 offset:17088                           // 00000001633C: D86C42C0 43000007
	ds_read_b32 v68, v7 offset:17152                           // 000000016344: D86C4300 44000007
	ds_read_b32 v69, v7 offset:17216                           // 00000001634C: D86C4340 45000007
	ds_read_b32 v70, v7 offset:17280                           // 000000016354: D86C4380 46000007
	ds_read_b32 v71, v7 offset:17344                           // 00000001635C: D86C43C0 47000007
	ds_read_b32 v72, v7 offset:17408                           // 000000016364: D86C4400 48000007
	ds_read_b32 v73, v7 offset:17472                           // 00000001636C: D86C4440 49000007
	ds_read_b32 v74, v7 offset:17536                           // 000000016374: D86C4480 4A000007
	ds_read_b32 v75, v7 offset:17600                           // 00000001637C: D86C44C0 4B000007
	ds_read_b32 v76, v7 offset:17664                           // 000000016384: D86C4500 4C000007
	ds_read_b32 v77, v7 offset:17728                           // 00000001638C: D86C4540 4D000007
	ds_read_b32 v78, v7 offset:17792                           // 000000016394: D86C4580 4E000007
	ds_read_b32 v79, v7 offset:17856                           // 00000001639C: D86C45C0 4F000007
	v_mul_f32_e32 v192, v46, v192                              // 0000000163A4: 0B81812E
	v_mul_f32_e32 v193, v46, v193                              // 0000000163A8: 0B83832E
	v_mul_f32_e32 v194, v46, v194                              // 0000000163AC: 0B85852E
	v_mul_f32_e32 v195, v46, v195                              // 0000000163B0: 0B87872E
	v_mul_f32_e32 v196, v46, v196                              // 0000000163B4: 0B89892E
	v_mul_f32_e32 v197, v46, v197                              // 0000000163B8: 0B8B8B2E
	v_mul_f32_e32 v198, v46, v198                              // 0000000163BC: 0B8D8D2E
	v_mul_f32_e32 v199, v46, v199                              // 0000000163C0: 0B8F8F2E
	s_waitcnt lgkmcnt(0)                                       // 0000000163C4: BF8CC07F
	v_max3_f32 v48, v64, v65, v48                              // 0000000163C8: D1D30030 04C28340
	v_max3_f32 v48, v66, v67, v48                              // 0000000163D0: D1D30030 04C28742
	v_max3_f32 v48, v68, v69, v48                              // 0000000163D8: D1D30030 04C28B44
	v_max3_f32 v48, v70, v71, v48                              // 0000000163E0: D1D30030 04C28F46
	v_max3_f32 v48, v72, v73, v48                              // 0000000163E8: D1D30030 04C29348
	v_max3_f32 v48, v74, v75, v48                              // 0000000163F0: D1D30030 04C2974A
	v_max3_f32 v48, v76, v77, v48                              // 0000000163F8: D1D30030 04C29B4C
	v_max3_f32 v48, v78, v79, v48                              // 000000016400: D1D30030 04C29F4E
	v_mov_b32_e32 v64, 0xff800000                              // 000000016408: 7E8002FF FF800000
	v_cmp_eq_u32_e64 s[40:41], v64, v13                        // 000000016410: D0CA0028 00021B40
	s_nop 1                                                    // 000000016418: BF800001
	v_max_f32_e32 v15, v48, v13                                // 00000001641C: 161E1B30
	v_mul_f32_e32 v53, s64, v15                                // 000000016420: 0A6A1E40
	v_fma_f32 v144, v144, s64, -v53                            // 000000016424: D1CB0090 84D48190
	v_fma_f32 v145, v145, s64, -v53                            // 00000001642C: D1CB0091 84D48191
	v_fma_f32 v146, v146, s64, -v53                            // 000000016434: D1CB0092 84D48192
	v_fma_f32 v147, v147, s64, -v53                            // 00000001643C: D1CB0093 84D48193
	v_fma_f32 v148, v148, s64, -v53                            // 000000016444: D1CB0094 84D48194
	v_fma_f32 v149, v149, s64, -v53                            // 00000001644C: D1CB0095 84D48195
	v_fma_f32 v150, v150, s64, -v53                            // 000000016454: D1CB0096 84D48196
	v_fma_f32 v151, v151, s64, -v53                            // 00000001645C: D1CB0097 84D48197
	v_fma_f32 v152, v152, s64, -v53                            // 000000016464: D1CB0098 84D48198
	v_fma_f32 v153, v153, s64, -v53                            // 00000001646C: D1CB0099 84D48199
	v_fma_f32 v154, v154, s64, -v53                            // 000000016474: D1CB009A 84D4819A
	v_fma_f32 v155, v155, s64, -v53                            // 00000001647C: D1CB009B 84D4819B
	v_fma_f32 v156, v156, s64, -v53                            // 000000016484: D1CB009C 84D4819C
	v_fma_f32 v157, v157, s64, -v53                            // 00000001648C: D1CB009D 84D4819D
	v_fma_f32 v158, v158, s64, -v53                            // 000000016494: D1CB009E 84D4819E
	v_fma_f32 v159, v159, s64, -v53                            // 00000001649C: D1CB009F 84D4819F
	v_exp_f32_e32 v144, v144                                   // 0000000164A4: 7F204190
	v_exp_f32_e32 v145, v145                                   // 0000000164A8: 7F224191
	v_exp_f32_e32 v146, v146                                   // 0000000164AC: 7F244192
	v_exp_f32_e32 v147, v147                                   // 0000000164B0: 7F264193
	v_exp_f32_e32 v148, v148                                   // 0000000164B4: 7F284194
	v_exp_f32_e32 v149, v149                                   // 0000000164B8: 7F2A4195
	v_exp_f32_e32 v150, v150                                   // 0000000164BC: 7F2C4196
	v_exp_f32_e32 v151, v151                                   // 0000000164C0: 7F2E4197
	v_exp_f32_e32 v152, v152                                   // 0000000164C4: 7F304198
	v_exp_f32_e32 v153, v153                                   // 0000000164C8: 7F324199
	v_exp_f32_e32 v154, v154                                   // 0000000164CC: 7F34419A
	v_exp_f32_e32 v155, v155                                   // 0000000164D0: 7F36419B
	v_exp_f32_e32 v156, v156                                   // 0000000164D4: 7F38419C
	v_exp_f32_e32 v157, v157                                   // 0000000164D8: 7F3A419D
	v_exp_f32_e32 v158, v158                                   // 0000000164DC: 7F3C419E
	v_exp_f32_e32 v159, v159                                   // 0000000164E0: 7F3E419F
	v_mul_f32_dpp v240, v252, v144 quad_perm:[0,0,0,0] row_mask:0xf bank_mask:0xf// 0000000164E4: 0BE120FA FF0000FC
	v_mul_f32_dpp v241, v252, v145 quad_perm:[1,1,1,1] row_mask:0xf bank_mask:0xf// 0000000164EC: 0BE322FA FF0055FC
	v_mul_f32_dpp v242, v252, v146 quad_perm:[2,2,2,2] row_mask:0xf bank_mask:0xf// 0000000164F4: 0BE524FA FF00AAFC
	v_mul_f32_dpp v243, v252, v147 quad_perm:[3,3,3,3] row_mask:0xf bank_mask:0xf// 0000000164FC: 0BE726FA FF00FFFC
	v_mul_f32_dpp v244, v253, v148 quad_perm:[0,0,0,0] row_mask:0xf bank_mask:0xf// 000000016504: 0BE928FA FF0000FD
	v_mul_f32_dpp v245, v253, v149 quad_perm:[1,1,1,1] row_mask:0xf bank_mask:0xf// 00000001650C: 0BEB2AFA FF0055FD
	v_mul_f32_dpp v246, v253, v150 quad_perm:[2,2,2,2] row_mask:0xf bank_mask:0xf// 000000016514: 0BED2CFA FF00AAFD
	v_mul_f32_dpp v247, v253, v151 quad_perm:[3,3,3,3] row_mask:0xf bank_mask:0xf// 00000001651C: 0BEF2EFA FF00FFFD
	v_mul_f32_dpp v248, v254, v152 quad_perm:[0,0,0,0] row_mask:0xf bank_mask:0xf// 000000016524: 0BF130FA FF0000FE
	v_mul_f32_dpp v249, v254, v153 quad_perm:[1,1,1,1] row_mask:0xf bank_mask:0xf// 00000001652C: 0BF332FA FF0055FE
	v_mul_f32_dpp v250, v254, v154 quad_perm:[2,2,2,2] row_mask:0xf bank_mask:0xf// 000000016534: 0BF534FA FF00AAFE
	v_mul_f32_dpp v251, v254, v155 quad_perm:[3,3,3,3] row_mask:0xf bank_mask:0xf// 00000001653C: 0BF736FA FF00FFFE
	v_mul_f32_dpp v252, v255, v156 quad_perm:[0,0,0,0] row_mask:0xf bank_mask:0xf// 000000016544: 0BF938FA FF0000FF
	v_mul_f32_dpp v253, v255, v157 quad_perm:[1,1,1,1] row_mask:0xf bank_mask:0xf// 00000001654C: 0BFB3AFA FF0055FF
	v_mul_f32_dpp v254, v255, v158 quad_perm:[2,2,2,2] row_mask:0xf bank_mask:0xf// 000000016554: 0BFD3CFA FF00AAFF
	v_mul_f32_dpp v255, v255, v159 quad_perm:[3,3,3,3] row_mask:0xf bank_mask:0xf// 00000001655C: 0BFF3EFA FF00FFFF
	v_mov_b32_e32 v48, 0x358637bd                              // 000000016564: 7E6002FF 358637BD
	v_max3_f32 v48, |v240|, |v241|, v48                        // 00000001656C: D1D30330 04C3E3F0
	v_max3_f32 v48, |v242|, |v243|, v48                        // 000000016574: D1D30330 04C3E7F2
	v_max3_f32 v48, |v244|, |v245|, v48                        // 00000001657C: D1D30330 04C3EBF4
	v_max3_f32 v48, |v246|, |v247|, v48                        // 000000016584: D1D30330 04C3EFF6
	v_max3_f32 v48, |v248|, |v249|, v48                        // 00000001658C: D1D30330 04C3F3F8
	v_max3_f32 v48, |v250|, |v251|, v48                        // 000000016594: D1D30330 04C3F7FA
	v_max3_f32 v48, |v252|, |v253|, v48                        // 00000001659C: D1D30330 04C3FBFC
	v_max3_f32 v48, |v254|, |v255|, v48                        // 0000000165A4: D1D30330 04C3FFFE
	ds_write_b32 v8, v48 offset:20992                          // 0000000165AC: D81A5200 00003008
	v_sub_f32_e32 v51, v13, v15                                // 0000000165B4: 04661F0D
	v_cndmask_b32_e64 v51, v51, 0, s[40:41]                    // 0000000165B8: D1000033 00A10133
	v_mov_b32_e32 v13, v15                                     // 0000000165C0: 7E1A030F
	v_mul_f32_e32 v51, s64, v51                                // 0000000165C4: 0A666640
	v_exp_f32_e32 v51, v51                                     // 0000000165C8: 7E664133
	s_waitcnt lgkmcnt(0)                                       // 0000000165CC: BF8CC07F
	s_barrier                                                  // 0000000165D0: BF8A0000
	ds_read_b32 v64, v7 offset:20992                           // 0000000165D4: D86C5200 40000007
	ds_read_b32 v65, v7 offset:21056                           // 0000000165DC: D86C5240 41000007
	ds_read_b32 v66, v7 offset:21120                           // 0000000165E4: D86C5280 42000007
	ds_read_b32 v67, v7 offset:21184                           // 0000000165EC: D86C52C0 43000007
	ds_read_b32 v68, v7 offset:21248                           // 0000000165F4: D86C5300 44000007
	ds_read_b32 v69, v7 offset:21312                           // 0000000165FC: D86C5340 45000007
	ds_read_b32 v70, v7 offset:21376                           // 000000016604: D86C5380 46000007
	ds_read_b32 v71, v7 offset:21440                           // 00000001660C: D86C53C0 47000007
	ds_read_b32 v72, v7 offset:21504                           // 000000016614: D86C5400 48000007
	ds_read_b32 v73, v7 offset:21568                           // 00000001661C: D86C5440 49000007
	ds_read_b32 v74, v7 offset:21632                           // 000000016624: D86C5480 4A000007
	ds_read_b32 v75, v7 offset:21696                           // 00000001662C: D86C54C0 4B000007
	ds_read_b32 v76, v7 offset:21760                           // 000000016634: D86C5500 4C000007
	ds_read_b32 v77, v7 offset:21824                           // 00000001663C: D86C5540 4D000007
	ds_read_b32 v78, v7 offset:21888                           // 000000016644: D86C5580 4E000007
	ds_read_b32 v79, v7 offset:21952                           // 00000001664C: D86C55C0 4F000007
	v_mul_f32_e32 v40, v51, v40                                // 000000016654: 0A505133
	v_mov_b32_e32 v15, v144                                    // 000000016658: 7E1E0390
	v_add_f32_e32 v15, v145, v15                               // 00000001665C: 021E1F91
	v_add_f32_e32 v15, v146, v15                               // 000000016660: 021E1F92
	v_add_f32_e32 v15, v147, v15                               // 000000016664: 021E1F93
	v_add_f32_e32 v15, v148, v15                               // 000000016668: 021E1F94
	v_add_f32_e32 v15, v149, v15                               // 00000001666C: 021E1F95
	v_add_f32_e32 v15, v150, v15                               // 000000016670: 021E1F96
	v_add_f32_e32 v15, v151, v15                               // 000000016674: 021E1F97
	v_add_f32_e32 v15, v152, v15                               // 000000016678: 021E1F98
	v_add_f32_e32 v15, v153, v15                               // 00000001667C: 021E1F99
	v_add_f32_e32 v15, v154, v15                               // 000000016680: 021E1F9A
	v_add_f32_e32 v15, v155, v15                               // 000000016684: 021E1F9B
	v_add_f32_e32 v15, v156, v15                               // 000000016688: 021E1F9C
	v_add_f32_e32 v15, v157, v15                               // 00000001668C: 021E1F9D
	v_add_f32_e32 v15, v158, v15                               // 000000016690: 021E1F9E
	v_add_f32_e32 v15, v159, v15                               // 000000016694: 021E1F9F
	v_add_f32_e32 v40, v15, v40                                // 000000016698: 0250510F
	s_waitcnt lgkmcnt(0)                                       // 00000001669C: BF8CC07F
	v_max3_f32 v48, |v64|, |v65|, v48                          // 0000000166A0: D1D30330 04C28340
	v_max3_f32 v48, |v66|, |v67|, v48                          // 0000000166A8: D1D30330 04C28742
	v_max3_f32 v48, |v68|, |v69|, v48                          // 0000000166B0: D1D30330 04C28B44
	v_max3_f32 v48, |v70|, |v71|, v48                          // 0000000166B8: D1D30330 04C28F46
	v_max3_f32 v48, |v72|, |v73|, v48                          // 0000000166C0: D1D30330 04C29348
	v_max3_f32 v48, |v74|, |v75|, v48                          // 0000000166C8: D1D30330 04C2974A
	v_max3_f32 v48, |v76|, |v77|, v48                          // 0000000166D0: D1D30330 04C29B4C
	v_max3_f32 v48, |v78|, |v79|, v48                          // 0000000166D8: D1D30330 04C29F4E
	s_nop 2                                                    // 0000000166E0: BF800002
	v_rcp_f32_e32 v48, v48                                     // 0000000166E4: 7E604530
	s_nop 1                                                    // 0000000166E8: BF800001
	v_mul_f32_e32 v48, 0x43e00000, v48                         // 0000000166EC: 0A6060FF 43E00000
	v_mul_f32_e32 v144, v48, v240                              // 0000000166F4: 0B21E130
	v_mul_f32_e32 v145, v48, v241                              // 0000000166F8: 0B23E330
	v_mul_f32_e32 v146, v48, v242                              // 0000000166FC: 0B25E530
	v_mul_f32_e32 v147, v48, v243                              // 000000016700: 0B27E730
	v_mul_f32_e32 v148, v48, v244                              // 000000016704: 0B29E930
	v_mul_f32_e32 v149, v48, v245                              // 000000016708: 0B2BEB30
	v_mul_f32_e32 v150, v48, v246                              // 00000001670C: 0B2DED30
	v_mul_f32_e32 v151, v48, v247                              // 000000016710: 0B2FEF30
	v_mul_f32_e32 v152, v48, v248                              // 000000016714: 0B31F130
	v_mul_f32_e32 v153, v48, v249                              // 000000016718: 0B33F330
	v_mul_f32_e32 v154, v48, v250                              // 00000001671C: 0B35F530
	v_mul_f32_e32 v155, v48, v251                              // 000000016720: 0B37F730
	v_mul_f32_e32 v156, v48, v252                              // 000000016724: 0B39F930
	v_mul_f32_e32 v157, v48, v253                              // 000000016728: 0B3BFB30
	v_mul_f32_e32 v158, v48, v254                              // 00000001672C: 0B3DFD30
	v_mul_f32_e32 v159, v48, v255                              // 000000016730: 0B3FFF30
	v_cvt_pk_fp8_f32 v144, v144, v145                          // 000000016734: D2A20090 00032390
	v_cvt_pk_fp8_f32 v144, v146, v147 op_sel:[0,0,1]           // 00000001673C: D2A24090 00032792
	v_cvt_pk_fp8_f32 v145, v148, v149                          // 000000016744: D2A20091 00032B94
	v_cvt_pk_fp8_f32 v145, v150, v151 op_sel:[0,0,1]           // 00000001674C: D2A24091 00032F96
	v_cvt_pk_fp8_f32 v146, v152, v153                          // 000000016754: D2A20092 00033398
	v_cvt_pk_fp8_f32 v146, v154, v155 op_sel:[0,0,1]           // 00000001675C: D2A24092 0003379A
	v_cvt_pk_fp8_f32 v147, v156, v157                          // 000000016764: D2A20093 00033B9C
	v_cvt_pk_fp8_f32 v147, v158, v159 op_sel:[0,0,1]           // 00000001676C: D2A24093 00033F9E
	ds_write_b32 v10, v144 offset:33280                        // 000000016774: D81A8200 0000900A
	ds_write_b32 v10, v145 offset:34304                        // 00000001677C: D81A8600 0000910A
	ds_write_b32 v10, v146 offset:35328                        // 000000016784: D81A8A00 0000920A
	ds_write_b32 v10, v147 offset:36352                        // 00000001678C: D81A8E00 0000930A
	v_add_f32_e32 v224, v224, v192                             // 000000016794: 03C181E0
	v_add_f32_e32 v225, v225, v193                             // 000000016798: 03C383E1
	v_add_f32_e32 v226, v226, v194                             // 00000001679C: 03C585E2
	v_add_f32_e32 v227, v227, v195                             // 0000000167A0: 03C787E3
	v_add_f32_e32 v228, v228, v196                             // 0000000167A4: 03C989E4
	v_add_f32_e32 v229, v229, v197                             // 0000000167A8: 03CB8BE5
	v_add_f32_e32 v230, v230, v198                             // 0000000167AC: 03CD8DE6
	v_add_f32_e32 v231, v231, v199                             // 0000000167B0: 03CF8FE7
	v_rcp_f32_e32 v46, v48                                     // 0000000167B4: 7E5C4530
	s_waitcnt lgkmcnt(0)                                       // 0000000167B8: BF8CC07F
	s_barrier                                                  // 0000000167BC: BF8A0000
	ds_read_b64 v[144:145], v9 offset:33280                    // 0000000167C0: D8EC8200 90000009
	ds_read_b64 v[146:147], v9 offset:33408                    // 0000000167C8: D8EC8280 92000009
	ds_read_b64 v[148:149], v9 offset:34304                    // 0000000167D0: D8EC8600 94000009
	ds_read_b64 v[150:151], v9 offset:34432                    // 0000000167D8: D8EC8680 96000009
	ds_read_b64 v[152:153], v9 offset:35328                    // 0000000167E0: D8EC8A00 98000009
	ds_read_b64 v[154:155], v9 offset:35456                    // 0000000167E8: D8EC8A80 9A000009
	ds_read_b64 v[156:157], v9 offset:36352                    // 0000000167F0: D8EC8E00 9C000009
	ds_read_b64 v[158:159], v9 offset:36480                    // 0000000167F8: D8EC8E80 9E000009
	s_waitcnt vmcnt(0)                                         // 000000016800: BF8C0F70
	s_barrier                                                  // 000000016804: BF8A0000
	v_mfma_f32_16x16x32_fp8_fp8 v[176:179], a[64:65], v[112:113], 0// 000000016808: D3F300B0 0A02E140
	v_mfma_f32_16x16x32_fp8_fp8 v[176:179], a[66:67], v[114:115], v[176:179]// 000000016810: D3F300B0 0EC2E542
	v_mfma_f32_16x16x32_fp8_fp8 v[176:179], a[68:69], v[116:117], v[176:179]// 000000016818: D3F300B0 0EC2E944
	v_mfma_f32_16x16x32_fp8_fp8 v[176:179], a[70:71], v[118:119], v[176:179]// 000000016820: D3F300B0 0EC2ED46
	v_mfma_f32_16x16x32_fp8_fp8 v[176:179], a[72:73], v[120:121], v[176:179]// 000000016828: D3F300B0 0EC2F148
	v_mfma_f32_16x16x32_fp8_fp8 v[176:179], a[74:75], v[122:123], v[176:179]// 000000016830: D3F300B0 0EC2F54A
	v_mfma_f32_16x16x32_fp8_fp8 v[176:179], a[76:77], v[124:125], v[176:179]// 000000016838: D3F300B0 0EC2F94C
	v_mfma_f32_16x16x32_fp8_fp8 v[176:179], a[78:79], v[126:127], v[176:179]// 000000016840: D3F300B0 0EC2FD4E
	v_mfma_f32_16x16x32_fp8_fp8 v[180:183], a[80:81], v[112:113], 0// 000000016848: D3F300B4 0A02E150
	v_mfma_f32_16x16x32_fp8_fp8 v[180:183], a[82:83], v[114:115], v[180:183]// 000000016850: D3F300B4 0ED2E552
	v_mfma_f32_16x16x32_fp8_fp8 v[180:183], a[84:85], v[116:117], v[180:183]// 000000016858: D3F300B4 0ED2E954
	v_mfma_f32_16x16x32_fp8_fp8 v[180:183], a[86:87], v[118:119], v[180:183]// 000000016860: D3F300B4 0ED2ED56
	v_mfma_f32_16x16x32_fp8_fp8 v[180:183], a[88:89], v[120:121], v[180:183]// 000000016868: D3F300B4 0ED2F158
	v_mfma_f32_16x16x32_fp8_fp8 v[180:183], a[90:91], v[122:123], v[180:183]// 000000016870: D3F300B4 0ED2F55A
	v_mfma_f32_16x16x32_fp8_fp8 v[180:183], a[92:93], v[124:125], v[180:183]// 000000016878: D3F300B4 0ED2F95C
	v_mfma_f32_16x16x32_fp8_fp8 v[180:183], a[94:95], v[126:127], v[180:183]// 000000016880: D3F300B4 0ED2FD5E
	v_mfma_f32_16x16x32_fp8_fp8 v[184:187], a[64:65], v[128:129], 0// 000000016888: D3F300B8 0A030140
	v_mfma_f32_16x16x32_fp8_fp8 v[184:187], a[66:67], v[130:131], v[184:187]// 000000016890: D3F300B8 0EE30542
	v_mfma_f32_16x16x32_fp8_fp8 v[184:187], a[68:69], v[132:133], v[184:187]// 000000016898: D3F300B8 0EE30944
	v_mfma_f32_16x16x32_fp8_fp8 v[184:187], a[70:71], v[134:135], v[184:187]// 0000000168A0: D3F300B8 0EE30D46
	v_mfma_f32_16x16x32_fp8_fp8 v[184:187], a[72:73], v[136:137], v[184:187]// 0000000168A8: D3F300B8 0EE31148
	v_mfma_f32_16x16x32_fp8_fp8 v[184:187], a[74:75], v[138:139], v[184:187]// 0000000168B0: D3F300B8 0EE3154A
	v_mfma_f32_16x16x32_fp8_fp8 v[184:187], a[76:77], v[140:141], v[184:187]// 0000000168B8: D3F300B8 0EE3194C
	v_mfma_f32_16x16x32_fp8_fp8 v[184:187], a[78:79], v[142:143], v[184:187]// 0000000168C0: D3F300B8 0EE31D4E
	v_mfma_f32_16x16x32_fp8_fp8 v[188:191], a[80:81], v[128:129], 0// 0000000168C8: D3F300BC 0A030150
	v_mfma_f32_16x16x32_fp8_fp8 v[188:191], a[82:83], v[130:131], v[188:191]// 0000000168D0: D3F300BC 0EF30552
	v_mfma_f32_16x16x32_fp8_fp8 v[188:191], a[84:85], v[132:133], v[188:191]// 0000000168D8: D3F300BC 0EF30954
	v_mfma_f32_16x16x32_fp8_fp8 v[188:191], a[86:87], v[134:135], v[188:191]// 0000000168E0: D3F300BC 0EF30D56
	v_mfma_f32_16x16x32_fp8_fp8 v[188:191], a[88:89], v[136:137], v[188:191]// 0000000168E8: D3F300BC 0EF31158
	v_mfma_f32_16x16x32_fp8_fp8 v[188:191], a[90:91], v[138:139], v[188:191]// 0000000168F0: D3F300BC 0EF3155A
	v_mfma_f32_16x16x32_fp8_fp8 v[188:191], a[92:93], v[140:141], v[188:191]// 0000000168F8: D3F300BC 0EF3195C
	v_mfma_f32_16x16x32_fp8_fp8 v[188:191], a[94:95], v[142:143], v[188:191]// 000000016900: D3F300BC 0EF31D5E
	v_mfma_f32_16x16x32_fp8_fp8 v[192:195], a[64:65], v[144:145], 0// 000000016908: D3F300C0 0A032140
	v_mfma_f32_16x16x32_fp8_fp8 v[192:195], a[66:67], v[146:147], v[192:195]// 000000016910: D3F300C0 0F032542
	v_mfma_f32_16x16x32_fp8_fp8 v[192:195], a[68:69], v[148:149], v[192:195]// 000000016918: D3F300C0 0F032944
	v_mfma_f32_16x16x32_fp8_fp8 v[192:195], a[70:71], v[150:151], v[192:195]// 000000016920: D3F300C0 0F032D46
	v_mfma_f32_16x16x32_fp8_fp8 v[192:195], a[72:73], v[152:153], v[192:195]// 000000016928: D3F300C0 0F033148
	v_mfma_f32_16x16x32_fp8_fp8 v[192:195], a[74:75], v[154:155], v[192:195]// 000000016930: D3F300C0 0F03354A
	v_mfma_f32_16x16x32_fp8_fp8 v[192:195], a[76:77], v[156:157], v[192:195]// 000000016938: D3F300C0 0F03394C
	v_mfma_f32_16x16x32_fp8_fp8 v[192:195], a[78:79], v[158:159], v[192:195]// 000000016940: D3F300C0 0F033D4E
	v_mfma_f32_16x16x32_fp8_fp8 v[196:199], a[80:81], v[144:145], 0// 000000016948: D3F300C4 0A032150
	v_mfma_f32_16x16x32_fp8_fp8 v[196:199], a[82:83], v[146:147], v[196:199]// 000000016950: D3F300C4 0F132552
	v_mfma_f32_16x16x32_fp8_fp8 v[196:199], a[84:85], v[148:149], v[196:199]// 000000016958: D3F300C4 0F132954
	v_mfma_f32_16x16x32_fp8_fp8 v[196:199], a[86:87], v[150:151], v[196:199]// 000000016960: D3F300C4 0F132D56
	v_mfma_f32_16x16x32_fp8_fp8 v[196:199], a[88:89], v[152:153], v[196:199]// 000000016968: D3F300C4 0F133158
	v_mfma_f32_16x16x32_fp8_fp8 v[196:199], a[90:91], v[154:155], v[196:199]// 000000016970: D3F300C4 0F13355A
	v_mfma_f32_16x16x32_fp8_fp8 v[196:199], a[92:93], v[156:157], v[196:199]// 000000016978: D3F300C4 0F13395C
	v_mfma_f32_16x16x32_fp8_fp8 v[196:199], a[94:95], v[158:159], v[196:199]// 000000016980: D3F300C4 0F133D5E
	s_nop 4                                                    // 000000016988: BF800004
	s_branch label_5922                                        // 00000001698C: BF82073E

0000000000016990 <label_51E4>:
	s_waitcnt vmcnt(8) lgkmcnt(0)                              // 000000016990: BF8C0078
	s_barrier                                                  // 000000016994: BF8A0000
	v_mfma_f32_16x16x32_fp8_fp8 v[112:115], a[32:33], v[80:81], 0// 000000016998: D3F30070 0A02A120
	v_mfma_f32_16x16x32_fp8_fp8 v[112:115], a[34:35], v[82:83], v[112:115]// 0000000169A0: D3F30070 0DC2A522
	v_mfma_f32_16x16x32_fp8_fp8 v[112:115], a[36:37], v[84:85], v[112:115]// 0000000169A8: D3F30070 0DC2A924
	v_mfma_f32_16x16x32_fp8_fp8 v[112:115], a[38:39], v[86:87], v[112:115]// 0000000169B0: D3F30070 0DC2AD26
	v_mfma_f32_16x16x32_fp8_fp8 v[116:119], a[40:41], v[80:81], 0// 0000000169B8: D3F30074 0A02A128
	v_mfma_f32_16x16x32_fp8_fp8 v[116:119], a[42:43], v[82:83], v[116:119]// 0000000169C0: D3F30074 0DD2A52A
	v_mfma_f32_16x16x32_fp8_fp8 v[116:119], a[44:45], v[84:85], v[116:119]// 0000000169C8: D3F30074 0DD2A92C
	v_mfma_f32_16x16x32_fp8_fp8 v[116:119], a[46:47], v[86:87], v[116:119]// 0000000169D0: D3F30074 0DD2AD2E
	v_mfma_f32_16x16x32_fp8_fp8 v[120:123], a[48:49], v[80:81], 0// 0000000169D8: D3F30078 0A02A130
	v_mfma_f32_16x16x32_fp8_fp8 v[120:123], a[50:51], v[82:83], v[120:123]// 0000000169E0: D3F30078 0DE2A532
	v_mfma_f32_16x16x32_fp8_fp8 v[120:123], a[52:53], v[84:85], v[120:123]// 0000000169E8: D3F30078 0DE2A934
	v_mfma_f32_16x16x32_fp8_fp8 v[120:123], a[54:55], v[86:87], v[120:123]// 0000000169F0: D3F30078 0DE2AD36
	v_mfma_f32_16x16x32_fp8_fp8 v[124:127], a[56:57], v[80:81], 0// 0000000169F8: D3F3007C 0A02A138
	v_mfma_f32_16x16x32_fp8_fp8 v[124:127], a[58:59], v[82:83], v[124:127]// 000000016A00: D3F3007C 0DF2A53A
	v_mfma_f32_16x16x32_fp8_fp8 v[124:127], a[60:61], v[84:85], v[124:127]// 000000016A08: D3F3007C 0DF2A93C
	v_mfma_f32_16x16x32_fp8_fp8 v[124:127], a[62:63], v[86:87], v[124:127]// 000000016A10: D3F3007C 0DF2AD3E
	v_mfma_f32_16x16x32_fp8_fp8 v[128:131], a[32:33], v[88:89], 0// 000000016A18: D3F30080 0A02B120
	v_mfma_f32_16x16x32_fp8_fp8 v[128:131], a[34:35], v[90:91], v[128:131]// 000000016A20: D3F30080 0E02B522
	v_mfma_f32_16x16x32_fp8_fp8 v[128:131], a[36:37], v[92:93], v[128:131]// 000000016A28: D3F30080 0E02B924
	v_mfma_f32_16x16x32_fp8_fp8 v[128:131], a[38:39], v[94:95], v[128:131]// 000000016A30: D3F30080 0E02BD26
	v_mfma_f32_16x16x32_fp8_fp8 v[132:135], a[40:41], v[88:89], 0// 000000016A38: D3F30084 0A02B128
	v_mfma_f32_16x16x32_fp8_fp8 v[132:135], a[42:43], v[90:91], v[132:135]// 000000016A40: D3F30084 0E12B52A
	v_mfma_f32_16x16x32_fp8_fp8 v[132:135], a[44:45], v[92:93], v[132:135]// 000000016A48: D3F30084 0E12B92C
	v_mfma_f32_16x16x32_fp8_fp8 v[132:135], a[46:47], v[94:95], v[132:135]// 000000016A50: D3F30084 0E12BD2E
	v_mfma_f32_16x16x32_fp8_fp8 v[136:139], a[48:49], v[88:89], 0// 000000016A58: D3F30088 0A02B130
	v_mfma_f32_16x16x32_fp8_fp8 v[136:139], a[50:51], v[90:91], v[136:139]// 000000016A60: D3F30088 0E22B532
	v_mfma_f32_16x16x32_fp8_fp8 v[136:139], a[52:53], v[92:93], v[136:139]// 000000016A68: D3F30088 0E22B934
	v_mfma_f32_16x16x32_fp8_fp8 v[136:139], a[54:55], v[94:95], v[136:139]// 000000016A70: D3F30088 0E22BD36
	v_mfma_f32_16x16x32_fp8_fp8 v[140:143], a[56:57], v[88:89], 0// 000000016A78: D3F3008C 0A02B138
	v_mfma_f32_16x16x32_fp8_fp8 v[140:143], a[58:59], v[90:91], v[140:143]// 000000016A80: D3F3008C 0E32B53A
	v_mfma_f32_16x16x32_fp8_fp8 v[140:143], a[60:61], v[92:93], v[140:143]// 000000016A88: D3F3008C 0E32B93C
	v_mfma_f32_16x16x32_fp8_fp8 v[140:143], a[62:63], v[94:95], v[140:143]// 000000016A90: D3F3008C 0E32BD3E
	v_mfma_f32_16x16x32_fp8_fp8 v[144:147], a[32:33], v[96:97], 0// 000000016A98: D3F30090 0A02C120
	v_mfma_f32_16x16x32_fp8_fp8 v[144:147], a[34:35], v[98:99], v[144:147]// 000000016AA0: D3F30090 0E42C522
	v_mfma_f32_16x16x32_fp8_fp8 v[144:147], a[36:37], v[100:101], v[144:147]// 000000016AA8: D3F30090 0E42C924
	v_mfma_f32_16x16x32_fp8_fp8 v[144:147], a[38:39], v[102:103], v[144:147]// 000000016AB0: D3F30090 0E42CD26
	v_mfma_f32_16x16x32_fp8_fp8 v[148:151], a[40:41], v[96:97], 0// 000000016AB8: D3F30094 0A02C128
	v_mfma_f32_16x16x32_fp8_fp8 v[148:151], a[42:43], v[98:99], v[148:151]// 000000016AC0: D3F30094 0E52C52A
	v_mfma_f32_16x16x32_fp8_fp8 v[148:151], a[44:45], v[100:101], v[148:151]// 000000016AC8: D3F30094 0E52C92C
	v_mfma_f32_16x16x32_fp8_fp8 v[148:151], a[46:47], v[102:103], v[148:151]// 000000016AD0: D3F30094 0E52CD2E
	v_mfma_f32_16x16x32_fp8_fp8 v[152:155], a[48:49], v[96:97], 0// 000000016AD8: D3F30098 0A02C130
	v_mfma_f32_16x16x32_fp8_fp8 v[152:155], a[50:51], v[98:99], v[152:155]// 000000016AE0: D3F30098 0E62C532
	v_mfma_f32_16x16x32_fp8_fp8 v[152:155], a[52:53], v[100:101], v[152:155]// 000000016AE8: D3F30098 0E62C934
	v_mfma_f32_16x16x32_fp8_fp8 v[152:155], a[54:55], v[102:103], v[152:155]// 000000016AF0: D3F30098 0E62CD36
	v_mfma_f32_16x16x32_fp8_fp8 v[156:159], a[56:57], v[96:97], 0// 000000016AF8: D3F3009C 0A02C138
	v_mfma_f32_16x16x32_fp8_fp8 v[156:159], a[58:59], v[98:99], v[156:159]// 000000016B00: D3F3009C 0E72C53A
	v_mfma_f32_16x16x32_fp8_fp8 v[156:159], a[60:61], v[100:101], v[156:159]// 000000016B08: D3F3009C 0E72C93C
	v_mfma_f32_16x16x32_fp8_fp8 v[156:159], a[62:63], v[102:103], v[156:159]// 000000016B10: D3F3009C 0E72CD3E
	v_mov_b32_dpp v64, v43 row_shr:4 row_mask:0xf bank_mask:0xf// 000000016B18: 7E8002FA FF01142B
	v_mov_b32_dpp v65, v43 row_shl:4 row_mask:0xf bank_mask:0xf// 000000016B20: 7E8202FA FF01042B
	v_cndmask_b32_e64 v248, v43, v64, s[44:45]                 // 000000016B28: D10000F8 00B2812B
	v_cndmask_b32_e64 v249, v65, v43, s[44:45]                 // 000000016B30: D10000F9 00B25741
	v_mov_b32_dpp v64, v248 row_shr:8 row_mask:0xf bank_mask:0xf// 000000016B38: 7E8002FA FF0118F8
	v_mov_b32_dpp v65, v248 row_shl:8 row_mask:0xf bank_mask:0xf// 000000016B40: 7E8202FA FF0108F8
	v_mov_b32_dpp v66, v249 row_shr:8 row_mask:0xf bank_mask:0xf// 000000016B48: 7E8402FA FF0118F9
	v_mov_b32_dpp v67, v249 row_shl:8 row_mask:0xf bank_mask:0xf// 000000016B50: 7E8602FA FF0108F9
	v_mov_b32_e32 v68, v248                                    // 000000016B58: 7E8803F8
	v_mov_b32_e32 v69, v249                                    // 000000016B5C: 7E8A03F9
	v_cndmask_b32_e64 v248, v68, v64, s[42:43]                 // 000000016B60: D10000F8 00AA8144
	v_cndmask_b32_e64 v250, v68, v65, s[78:79]                 // 000000016B68: D10000FA 013A8344
	v_cndmask_b32_e64 v249, v69, v66, s[42:43]                 // 000000016B70: D10000F9 00AA8545
	v_cndmask_b32_e64 v251, v69, v67, s[78:79]                 // 000000016B78: D10000FB 013A8745
	v_mov_b32_dpp v64, v58 row_shr:4 row_mask:0xf bank_mask:0xf// 000000016B80: 7E8002FA FF01143A
	v_mov_b32_dpp v65, v58 row_shl:4 row_mask:0xf bank_mask:0xf// 000000016B88: 7E8202FA FF01043A
	v_cndmask_b32_e64 v252, v58, v64, s[44:45]                 // 000000016B90: D10000FC 00B2813A
	v_cndmask_b32_e64 v253, v65, v58, s[44:45]                 // 000000016B98: D10000FD 00B27541
	v_mov_b32_dpp v64, v252 row_shr:8 row_mask:0xf bank_mask:0xf// 000000016BA0: 7E8002FA FF0118FC
	v_mov_b32_dpp v65, v252 row_shl:8 row_mask:0xf bank_mask:0xf// 000000016BA8: 7E8202FA FF0108FC
	v_mov_b32_dpp v66, v253 row_shr:8 row_mask:0xf bank_mask:0xf// 000000016BB0: 7E8402FA FF0118FD
	v_mov_b32_dpp v67, v253 row_shl:8 row_mask:0xf bank_mask:0xf// 000000016BB8: 7E8602FA FF0108FD
	v_mov_b32_e32 v68, v252                                    // 000000016BC0: 7E8803FC
	v_mov_b32_e32 v69, v253                                    // 000000016BC4: 7E8A03FD
	v_cndmask_b32_e64 v252, v68, v64, s[42:43]                 // 000000016BC8: D10000FC 00AA8144
	v_cndmask_b32_e64 v254, v68, v65, s[78:79]                 // 000000016BD0: D10000FE 013A8344
	v_cndmask_b32_e64 v253, v69, v66, s[42:43]                 // 000000016BD8: D10000FD 00AA8545
	v_cndmask_b32_e64 v255, v69, v67, s[78:79]                 // 000000016BE0: D10000FF 013A8745
	v_mul_f32_e32 v112, v18, v112                              // 000000016BE8: 0AE0E112
	v_mul_f32_e32 v113, v18, v113                              // 000000016BEC: 0AE2E312
	v_mul_f32_e32 v114, v18, v114                              // 000000016BF0: 0AE4E512
	v_mul_f32_e32 v115, v18, v115                              // 000000016BF4: 0AE6E712
	v_mul_f32_e32 v116, v18, v116                              // 000000016BF8: 0AE8E912
	v_mul_f32_e32 v117, v18, v117                              // 000000016BFC: 0AEAEB12
	v_mul_f32_e32 v118, v18, v118                              // 000000016C00: 0AECED12
	v_mul_f32_e32 v119, v18, v119                              // 000000016C04: 0AEEEF12
	v_mul_f32_e32 v120, v18, v120                              // 000000016C08: 0AF0F112
	v_mul_f32_e32 v121, v18, v121                              // 000000016C0C: 0AF2F312
	v_mul_f32_e32 v122, v18, v122                              // 000000016C10: 0AF4F512
	v_mul_f32_e32 v123, v18, v123                              // 000000016C14: 0AF6F712
	v_mul_f32_e32 v124, v18, v124                              // 000000016C18: 0AF8F912
	v_mul_f32_e32 v125, v18, v125                              // 000000016C1C: 0AFAFB12
	v_mul_f32_e32 v126, v18, v126                              // 000000016C20: 0AFCFD12
	v_mul_f32_e32 v127, v18, v127                              // 000000016C24: 0AFEFF12
	v_mul_f32_dpp v112, v248, v112 quad_perm:[0,0,0,0] row_mask:0xf bank_mask:0xf// 000000016C28: 0AE0E0FA FF0000F8
	v_mul_f32_dpp v113, v248, v113 quad_perm:[1,1,1,1] row_mask:0xf bank_mask:0xf// 000000016C30: 0AE2E2FA FF0055F8
	v_mul_f32_dpp v114, v248, v114 quad_perm:[2,2,2,2] row_mask:0xf bank_mask:0xf// 000000016C38: 0AE4E4FA FF00AAF8
	v_mul_f32_dpp v115, v248, v115 quad_perm:[3,3,3,3] row_mask:0xf bank_mask:0xf// 000000016C40: 0AE6E6FA FF00FFF8
	v_mul_f32_dpp v116, v249, v116 quad_perm:[0,0,0,0] row_mask:0xf bank_mask:0xf// 000000016C48: 0AE8E8FA FF0000F9
	v_mul_f32_dpp v117, v249, v117 quad_perm:[1,1,1,1] row_mask:0xf bank_mask:0xf// 000000016C50: 0AEAEAFA FF0055F9
	v_mul_f32_dpp v118, v249, v118 quad_perm:[2,2,2,2] row_mask:0xf bank_mask:0xf// 000000016C58: 0AECECFA FF00AAF9
	v_mul_f32_dpp v119, v249, v119 quad_perm:[3,3,3,3] row_mask:0xf bank_mask:0xf// 000000016C60: 0AEEEEFA FF00FFF9
	v_mul_f32_dpp v120, v250, v120 quad_perm:[0,0,0,0] row_mask:0xf bank_mask:0xf// 000000016C68: 0AF0F0FA FF0000FA
	v_mul_f32_dpp v121, v250, v121 quad_perm:[1,1,1,1] row_mask:0xf bank_mask:0xf// 000000016C70: 0AF2F2FA FF0055FA
	v_mul_f32_dpp v122, v250, v122 quad_perm:[2,2,2,2] row_mask:0xf bank_mask:0xf// 000000016C78: 0AF4F4FA FF00AAFA
	v_mul_f32_dpp v123, v250, v123 quad_perm:[3,3,3,3] row_mask:0xf bank_mask:0xf// 000000016C80: 0AF6F6FA FF00FFFA
	v_mul_f32_dpp v124, v251, v124 quad_perm:[0,0,0,0] row_mask:0xf bank_mask:0xf// 000000016C88: 0AF8F8FA FF0000FB
	v_mul_f32_dpp v125, v251, v125 quad_perm:[1,1,1,1] row_mask:0xf bank_mask:0xf// 000000016C90: 0AFAFAFA FF0055FB
	v_mul_f32_dpp v126, v251, v126 quad_perm:[2,2,2,2] row_mask:0xf bank_mask:0xf// 000000016C98: 0AFCFCFA FF00AAFB
	v_mul_f32_dpp v127, v251, v127 quad_perm:[3,3,3,3] row_mask:0xf bank_mask:0xf// 000000016CA0: 0AFEFEFA FF00FFFB
	s_and_b32 s60, s72, 0xff                                   // 000000016CA8: 863CFF48 000000FF
	v_mov_b32_e32 v65, s60                                     // 000000016CB0: 7E82023C
	v_lshrrev_b32_e32 v240, 4, v0                              // 000000016CB4: 21E00084
	v_mul_i32_i24_e32 v240, 4, v240                            // 000000016CB8: 0DE1E084
	s_mul_i32 s60, s7, 16                                      // 000000016CBC: 923C9007
	v_add_u32_e32 v240, s60, v240                              // 000000016CC0: 69E1E03C
	v_add_u32_e32 v241, 1, v240                                // 000000016CC4: 69E3E081
	v_add_u32_e32 v242, 2, v240                                // 000000016CC8: 69E5E082
	v_add_u32_e32 v243, 3, v240                                // 000000016CCC: 69E7E083
	v_mov_b32_e32 v64, 0xff800000                              // 000000016CD0: 7E8002FF FF800000
	v_cmp_lt_u32_e64 s[40:41], v240, v65                       // 000000016CD8: D0C90028 000283F0
	v_add_u32_e32 v240, 64, v240                               // 000000016CE0: 69E1E0C0
	s_nop 0                                                    // 000000016CE4: BF800000
	v_cndmask_b32_e64 v112, v64, v112, s[40:41]                // 000000016CE8: D1000070 00A2E140
	v_cmp_lt_u32_e64 s[40:41], v241, v65                       // 000000016CF0: D0C90028 000283F1
	v_add_u32_e32 v241, 64, v241                               // 000000016CF8: 69E3E2C0
	s_nop 0                                                    // 000000016CFC: BF800000
	v_cndmask_b32_e64 v113, v64, v113, s[40:41]                // 000000016D00: D1000071 00A2E340
	v_cmp_lt_u32_e64 s[40:41], v242, v65                       // 000000016D08: D0C90028 000283F2
	v_add_u32_e32 v242, 64, v242                               // 000000016D10: 69E5E4C0
	s_nop 0                                                    // 000000016D14: BF800000
	v_cndmask_b32_e64 v114, v64, v114, s[40:41]                // 000000016D18: D1000072 00A2E540
	v_cmp_lt_u32_e64 s[40:41], v243, v65                       // 000000016D20: D0C90028 000283F3
	v_add_u32_e32 v243, 64, v243                               // 000000016D28: 69E7E6C0
	s_nop 0                                                    // 000000016D2C: BF800000
	v_cndmask_b32_e64 v115, v64, v115, s[40:41]                // 000000016D30: D1000073 00A2E740
	v_cmp_lt_u32_e64 s[40:41], v240, v65                       // 000000016D38: D0C90028 000283F0
	v_add_u32_e32 v240, 64, v240                               // 000000016D40: 69E1E0C0
	s_nop 0                                                    // 000000016D44: BF800000
	v_cndmask_b32_e64 v116, v64, v116, s[40:41]                // 000000016D48: D1000074 00A2E940
	v_cmp_lt_u32_e64 s[40:41], v241, v65                       // 000000016D50: D0C90028 000283F1
	v_add_u32_e32 v241, 64, v241                               // 000000016D58: 69E3E2C0
	s_nop 0                                                    // 000000016D5C: BF800000
	v_cndmask_b32_e64 v117, v64, v117, s[40:41]                // 000000016D60: D1000075 00A2EB40
	v_cmp_lt_u32_e64 s[40:41], v242, v65                       // 000000016D68: D0C90028 000283F2
	v_add_u32_e32 v242, 64, v242                               // 000000016D70: 69E5E4C0
	s_nop 0                                                    // 000000016D74: BF800000
	v_cndmask_b32_e64 v118, v64, v118, s[40:41]                // 000000016D78: D1000076 00A2ED40
	v_cmp_lt_u32_e64 s[40:41], v243, v65                       // 000000016D80: D0C90028 000283F3
	v_add_u32_e32 v243, 64, v243                               // 000000016D88: 69E7E6C0
	s_nop 0                                                    // 000000016D8C: BF800000
	v_cndmask_b32_e64 v119, v64, v119, s[40:41]                // 000000016D90: D1000077 00A2EF40
	v_cmp_lt_u32_e64 s[40:41], v240, v65                       // 000000016D98: D0C90028 000283F0
	v_add_u32_e32 v240, 64, v240                               // 000000016DA0: 69E1E0C0
	s_nop 0                                                    // 000000016DA4: BF800000
	v_cndmask_b32_e64 v120, v64, v120, s[40:41]                // 000000016DA8: D1000078 00A2F140
	v_cmp_lt_u32_e64 s[40:41], v241, v65                       // 000000016DB0: D0C90028 000283F1
	v_add_u32_e32 v241, 64, v241                               // 000000016DB8: 69E3E2C0
	s_nop 0                                                    // 000000016DBC: BF800000
	v_cndmask_b32_e64 v121, v64, v121, s[40:41]                // 000000016DC0: D1000079 00A2F340
	v_cmp_lt_u32_e64 s[40:41], v242, v65                       // 000000016DC8: D0C90028 000283F2
	v_add_u32_e32 v242, 64, v242                               // 000000016DD0: 69E5E4C0
	s_nop 0                                                    // 000000016DD4: BF800000
	v_cndmask_b32_e64 v122, v64, v122, s[40:41]                // 000000016DD8: D100007A 00A2F540
	v_cmp_lt_u32_e64 s[40:41], v243, v65                       // 000000016DE0: D0C90028 000283F3
	v_add_u32_e32 v243, 64, v243                               // 000000016DE8: 69E7E6C0
	s_nop 0                                                    // 000000016DEC: BF800000
	v_cndmask_b32_e64 v123, v64, v123, s[40:41]                // 000000016DF0: D100007B 00A2F740
	v_cmp_lt_u32_e64 s[40:41], v240, v65                       // 000000016DF8: D0C90028 000283F0
	v_add_u32_e32 v240, 64, v240                               // 000000016E00: 69E1E0C0
	s_nop 0                                                    // 000000016E04: BF800000
	v_cndmask_b32_e64 v124, v64, v124, s[40:41]                // 000000016E08: D100007C 00A2F940
	v_cmp_lt_u32_e64 s[40:41], v241, v65                       // 000000016E10: D0C90028 000283F1
	v_add_u32_e32 v241, 64, v241                               // 000000016E18: 69E3E2C0
	s_nop 0                                                    // 000000016E1C: BF800000
	v_cndmask_b32_e64 v125, v64, v125, s[40:41]                // 000000016E20: D100007D 00A2FB40
	v_cmp_lt_u32_e64 s[40:41], v242, v65                       // 000000016E28: D0C90028 000283F2
	v_add_u32_e32 v242, 64, v242                               // 000000016E30: 69E5E4C0
	s_nop 0                                                    // 000000016E34: BF800000
	v_cndmask_b32_e64 v126, v64, v126, s[40:41]                // 000000016E38: D100007E 00A2FD40
	v_cmp_lt_u32_e64 s[40:41], v243, v65                       // 000000016E40: D0C90028 000283F3
	v_add_u32_e32 v243, 64, v243                               // 000000016E48: 69E7E6C0
	s_nop 0                                                    // 000000016E4C: BF800000
	v_cndmask_b32_e64 v127, v64, v127, s[40:41]                // 000000016E50: D100007F 00A2FF40
	v_mov_b32_e32 v48, v112                                    // 000000016E58: 7E600370
	v_max3_f32 v48, v112, v113, v48                            // 000000016E5C: D1D30030 04C2E370
	v_max3_f32 v48, v114, v115, v48                            // 000000016E64: D1D30030 04C2E772
	v_max3_f32 v48, v116, v117, v48                            // 000000016E6C: D1D30030 04C2EB74
	v_max3_f32 v48, v118, v119, v48                            // 000000016E74: D1D30030 04C2EF76
	v_max3_f32 v48, v120, v121, v48                            // 000000016E7C: D1D30030 04C2F378
	v_max3_f32 v48, v122, v123, v48                            // 000000016E84: D1D30030 04C2F77A
	v_max3_f32 v48, v124, v125, v48                            // 000000016E8C: D1D30030 04C2FB7C
	v_max3_f32 v48, v126, v127, v48                            // 000000016E94: D1D30030 04C2FF7E
	ds_write_b32 v8, v48 offset:16896                          // 000000016E9C: D81A4200 00003008
	v_mul_u32_u24_dpp v64, v16, v54 row_newbcast:1 row_mask:0xf bank_mask:0xf// 000000016EA4: 10806CFA FF015110
	v_mul_u32_u24_dpp v65, v16, v54 row_newbcast:5 row_mask:0xf bank_mask:0xf// 000000016EAC: 10826CFA FF015510
	v_mul_u32_u24_dpp v66, v16, v54 row_newbcast:9 row_mask:0xf bank_mask:0xf// 000000016EB4: 10846CFA FF015910
	v_mul_u32_u24_dpp v67, v16, v54 row_newbcast:13 row_mask:0xf bank_mask:0xf// 000000016EBC: 10866CFA FF015D10
	v_add_u32_e32 v30, v64, v6                                 // 000000016EC4: 683C0D40
	v_add_u32_e32 v31, v65, v6                                 // 000000016EC8: 683E0D41
	v_add_u32_e32 v32, v66, v6                                 // 000000016ECC: 68400D42
	v_add_u32_e32 v33, v67, v6                                 // 000000016ED0: 68420D43
	v_mul_f32_e32 v208, v49, v208                              // 000000016ED4: 0BA1A131
	v_mul_f32_e32 v209, v49, v209                              // 000000016ED8: 0BA3A331
	v_mul_f32_e32 v210, v49, v210                              // 000000016EDC: 0BA5A531
	v_mul_f32_e32 v211, v49, v211                              // 000000016EE0: 0BA7A731
	v_mul_f32_e32 v212, v49, v212                              // 000000016EE4: 0BA9A931
	v_mul_f32_e32 v213, v49, v213                              // 000000016EE8: 0BABAB31
	v_mul_f32_e32 v214, v49, v214                              // 000000016EEC: 0BADAD31
	v_mul_f32_e32 v215, v49, v215                              // 000000016EF0: 0BAFAF31
	s_waitcnt lgkmcnt(0)                                       // 000000016EF4: BF8CC07F
	s_barrier                                                  // 000000016EF8: BF8A0000
	ds_read_b32 v64, v7 offset:16896                           // 000000016EFC: D86C4200 40000007
	ds_read_b32 v65, v7 offset:16960                           // 000000016F04: D86C4240 41000007
	ds_read_b32 v66, v7 offset:17024                           // 000000016F0C: D86C4280 42000007
	ds_read_b32 v67, v7 offset:17088                           // 000000016F14: D86C42C0 43000007
	ds_read_b32 v68, v7 offset:17152                           // 000000016F1C: D86C4300 44000007
	ds_read_b32 v69, v7 offset:17216                           // 000000016F24: D86C4340 45000007
	ds_read_b32 v70, v7 offset:17280                           // 000000016F2C: D86C4380 46000007
	ds_read_b32 v71, v7 offset:17344                           // 000000016F34: D86C43C0 47000007
	ds_read_b32 v72, v7 offset:17408                           // 000000016F3C: D86C4400 48000007
	ds_read_b32 v73, v7 offset:17472                           // 000000016F44: D86C4440 49000007
	ds_read_b32 v74, v7 offset:17536                           // 000000016F4C: D86C4480 4A000007
	ds_read_b32 v75, v7 offset:17600                           // 000000016F54: D86C44C0 4B000007
	ds_read_b32 v76, v7 offset:17664                           // 000000016F5C: D86C4500 4C000007
	ds_read_b32 v77, v7 offset:17728                           // 000000016F64: D86C4540 4D000007
	ds_read_b32 v78, v7 offset:17792                           // 000000016F6C: D86C4580 4E000007
	ds_read_b32 v79, v7 offset:17856                           // 000000016F74: D86C45C0 4F000007
	v_mul_f32_e32 v176, v44, v176                              // 000000016F7C: 0B61612C
	v_mul_f32_e32 v177, v44, v177                              // 000000016F80: 0B63632C
	v_mul_f32_e32 v178, v44, v178                              // 000000016F84: 0B65652C
	v_mul_f32_e32 v179, v44, v179                              // 000000016F88: 0B67672C
	v_mul_f32_e32 v180, v44, v180                              // 000000016F8C: 0B69692C
	v_mul_f32_e32 v181, v44, v181                              // 000000016F90: 0B6B6B2C
	v_mul_f32_e32 v182, v44, v182                              // 000000016F94: 0B6D6D2C
	v_mul_f32_e32 v183, v44, v183                              // 000000016F98: 0B6F6F2C
	s_waitcnt lgkmcnt(0)                                       // 000000016F9C: BF8CC07F
	v_max3_f32 v48, v64, v65, v48                              // 000000016FA0: D1D30030 04C28340
	v_max3_f32 v48, v66, v67, v48                              // 000000016FA8: D1D30030 04C28742
	v_max3_f32 v48, v68, v69, v48                              // 000000016FB0: D1D30030 04C28B44
	v_max3_f32 v48, v70, v71, v48                              // 000000016FB8: D1D30030 04C28F46
	v_max3_f32 v48, v72, v73, v48                              // 000000016FC0: D1D30030 04C29348
	v_max3_f32 v48, v74, v75, v48                              // 000000016FC8: D1D30030 04C2974A
	v_max3_f32 v48, v76, v77, v48                              // 000000016FD0: D1D30030 04C29B4C
	v_max3_f32 v48, v78, v79, v48                              // 000000016FD8: D1D30030 04C29F4E
	v_mov_b32_e32 v64, 0xff800000                              // 000000016FE0: 7E8002FF FF800000
	v_cmp_eq_u32_e64 s[40:41], v64, v11                        // 000000016FE8: D0CA0028 00021740
	s_nop 1                                                    // 000000016FF0: BF800001
	v_max_f32_e32 v15, v48, v11                                // 000000016FF4: 161E1730
	v_mul_f32_e32 v53, s64, v15                                // 000000016FF8: 0A6A1E40
	v_fma_f32 v112, v112, s64, -v53                            // 000000016FFC: D1CB0070 84D48170
	v_fma_f32 v113, v113, s64, -v53                            // 000000017004: D1CB0071 84D48171
	v_fma_f32 v114, v114, s64, -v53                            // 00000001700C: D1CB0072 84D48172
	v_fma_f32 v115, v115, s64, -v53                            // 000000017014: D1CB0073 84D48173
	v_fma_f32 v116, v116, s64, -v53                            // 00000001701C: D1CB0074 84D48174
	v_fma_f32 v117, v117, s64, -v53                            // 000000017024: D1CB0075 84D48175
	v_fma_f32 v118, v118, s64, -v53                            // 00000001702C: D1CB0076 84D48176
	v_fma_f32 v119, v119, s64, -v53                            // 000000017034: D1CB0077 84D48177
	v_fma_f32 v120, v120, s64, -v53                            // 00000001703C: D1CB0078 84D48178
	v_fma_f32 v121, v121, s64, -v53                            // 000000017044: D1CB0079 84D48179
	v_fma_f32 v122, v122, s64, -v53                            // 00000001704C: D1CB007A 84D4817A
	v_fma_f32 v123, v123, s64, -v53                            // 000000017054: D1CB007B 84D4817B
	v_fma_f32 v124, v124, s64, -v53                            // 00000001705C: D1CB007C 84D4817C
	v_fma_f32 v125, v125, s64, -v53                            // 000000017064: D1CB007D 84D4817D
	v_fma_f32 v126, v126, s64, -v53                            // 00000001706C: D1CB007E 84D4817E
	v_fma_f32 v127, v127, s64, -v53                            // 000000017074: D1CB007F 84D4817F
	v_exp_f32_e32 v112, v112                                   // 00000001707C: 7EE04170
	v_exp_f32_e32 v113, v113                                   // 000000017080: 7EE24171
	v_exp_f32_e32 v114, v114                                   // 000000017084: 7EE44172
	v_exp_f32_e32 v115, v115                                   // 000000017088: 7EE64173
	v_exp_f32_e32 v116, v116                                   // 00000001708C: 7EE84174
	v_exp_f32_e32 v117, v117                                   // 000000017090: 7EEA4175
	v_exp_f32_e32 v118, v118                                   // 000000017094: 7EEC4176
	v_exp_f32_e32 v119, v119                                   // 000000017098: 7EEE4177
	v_exp_f32_e32 v120, v120                                   // 00000001709C: 7EF04178
	v_exp_f32_e32 v121, v121                                   // 0000000170A0: 7EF24179
	v_exp_f32_e32 v122, v122                                   // 0000000170A4: 7EF4417A
	v_exp_f32_e32 v123, v123                                   // 0000000170A8: 7EF6417B
	v_exp_f32_e32 v124, v124                                   // 0000000170AC: 7EF8417C
	v_exp_f32_e32 v125, v125                                   // 0000000170B0: 7EFA417D
	v_exp_f32_e32 v126, v126                                   // 0000000170B4: 7EFC417E
	v_exp_f32_e32 v127, v127                                   // 0000000170B8: 7EFE417F
	v_mul_f32_dpp v240, v252, v112 quad_perm:[0,0,0,0] row_mask:0xf bank_mask:0xf// 0000000170BC: 0BE0E0FA FF0000FC
	v_mul_f32_dpp v241, v252, v113 quad_perm:[1,1,1,1] row_mask:0xf bank_mask:0xf// 0000000170C4: 0BE2E2FA FF0055FC
	v_mul_f32_dpp v242, v252, v114 quad_perm:[2,2,2,2] row_mask:0xf bank_mask:0xf// 0000000170CC: 0BE4E4FA FF00AAFC
	v_mul_f32_dpp v243, v252, v115 quad_perm:[3,3,3,3] row_mask:0xf bank_mask:0xf// 0000000170D4: 0BE6E6FA FF00FFFC
	v_mul_f32_dpp v244, v253, v116 quad_perm:[0,0,0,0] row_mask:0xf bank_mask:0xf// 0000000170DC: 0BE8E8FA FF0000FD
	v_mul_f32_dpp v245, v253, v117 quad_perm:[1,1,1,1] row_mask:0xf bank_mask:0xf// 0000000170E4: 0BEAEAFA FF0055FD
	v_mul_f32_dpp v246, v253, v118 quad_perm:[2,2,2,2] row_mask:0xf bank_mask:0xf// 0000000170EC: 0BECECFA FF00AAFD
	v_mul_f32_dpp v247, v253, v119 quad_perm:[3,3,3,3] row_mask:0xf bank_mask:0xf// 0000000170F4: 0BEEEEFA FF00FFFD
	v_mul_f32_dpp v248, v254, v120 quad_perm:[0,0,0,0] row_mask:0xf bank_mask:0xf// 0000000170FC: 0BF0F0FA FF0000FE
	v_mul_f32_dpp v249, v254, v121 quad_perm:[1,1,1,1] row_mask:0xf bank_mask:0xf// 000000017104: 0BF2F2FA FF0055FE
	v_mul_f32_dpp v250, v254, v122 quad_perm:[2,2,2,2] row_mask:0xf bank_mask:0xf// 00000001710C: 0BF4F4FA FF00AAFE
	v_mul_f32_dpp v251, v254, v123 quad_perm:[3,3,3,3] row_mask:0xf bank_mask:0xf// 000000017114: 0BF6F6FA FF00FFFE
	v_mul_f32_dpp v252, v255, v124 quad_perm:[0,0,0,0] row_mask:0xf bank_mask:0xf// 00000001711C: 0BF8F8FA FF0000FF
	v_mul_f32_dpp v253, v255, v125 quad_perm:[1,1,1,1] row_mask:0xf bank_mask:0xf// 000000017124: 0BFAFAFA FF0055FF
	v_mul_f32_dpp v254, v255, v126 quad_perm:[2,2,2,2] row_mask:0xf bank_mask:0xf// 00000001712C: 0BFCFCFA FF00AAFF
	v_mul_f32_dpp v255, v255, v127 quad_perm:[3,3,3,3] row_mask:0xf bank_mask:0xf// 000000017134: 0BFEFEFA FF00FFFF
	v_mov_b32_e32 v48, 0x358637bd                              // 00000001713C: 7E6002FF 358637BD
	v_max3_f32 v48, |v240|, |v241|, v48                        // 000000017144: D1D30330 04C3E3F0
	v_max3_f32 v48, |v242|, |v243|, v48                        // 00000001714C: D1D30330 04C3E7F2
	v_max3_f32 v48, |v244|, |v245|, v48                        // 000000017154: D1D30330 04C3EBF4
	v_max3_f32 v48, |v246|, |v247|, v48                        // 00000001715C: D1D30330 04C3EFF6
	v_max3_f32 v48, |v248|, |v249|, v48                        // 000000017164: D1D30330 04C3F3F8
	v_max3_f32 v48, |v250|, |v251|, v48                        // 00000001716C: D1D30330 04C3F7FA
	v_max3_f32 v48, |v252|, |v253|, v48                        // 000000017174: D1D30330 04C3FBFC
	v_max3_f32 v48, |v254|, |v255|, v48                        // 00000001717C: D1D30330 04C3FFFE
	ds_write_b32 v8, v48 offset:20992                          // 000000017184: D81A5200 00003008
	v_sub_f32_e32 v49, v11, v15                                // 00000001718C: 04621F0B
	v_cndmask_b32_e64 v49, v49, 0, s[40:41]                    // 000000017190: D1000031 00A10131
	v_mov_b32_e32 v11, v15                                     // 000000017198: 7E16030F
	v_mul_f32_e32 v49, s64, v49                                // 00000001719C: 0A626240
	v_exp_f32_e32 v49, v49                                     // 0000000171A0: 7E624131
	s_waitcnt lgkmcnt(0)                                       // 0000000171A4: BF8CC07F
	s_barrier                                                  // 0000000171A8: BF8A0000
	ds_read_b32 v64, v7 offset:20992                           // 0000000171AC: D86C5200 40000007
	ds_read_b32 v65, v7 offset:21056                           // 0000000171B4: D86C5240 41000007
	ds_read_b32 v66, v7 offset:21120                           // 0000000171BC: D86C5280 42000007
	ds_read_b32 v67, v7 offset:21184                           // 0000000171C4: D86C52C0 43000007
	ds_read_b32 v68, v7 offset:21248                           // 0000000171CC: D86C5300 44000007
	ds_read_b32 v69, v7 offset:21312                           // 0000000171D4: D86C5340 45000007
	ds_read_b32 v70, v7 offset:21376                           // 0000000171DC: D86C5380 46000007
	ds_read_b32 v71, v7 offset:21440                           // 0000000171E4: D86C53C0 47000007
	ds_read_b32 v72, v7 offset:21504                           // 0000000171EC: D86C5400 48000007
	ds_read_b32 v73, v7 offset:21568                           // 0000000171F4: D86C5440 49000007
	ds_read_b32 v74, v7 offset:21632                           // 0000000171FC: D86C5480 4A000007
	ds_read_b32 v75, v7 offset:21696                           // 000000017204: D86C54C0 4B000007
	ds_read_b32 v76, v7 offset:21760                           // 00000001720C: D86C5500 4C000007
	ds_read_b32 v77, v7 offset:21824                           // 000000017214: D86C5540 4D000007
	ds_read_b32 v78, v7 offset:21888                           // 00000001721C: D86C5580 4E000007
	ds_read_b32 v79, v7 offset:21952                           // 000000017224: D86C55C0 4F000007
	v_mul_f32_e32 v38, v49, v38                                // 00000001722C: 0A4C4D31
	v_mov_b32_e32 v15, v112                                    // 000000017230: 7E1E0370
	v_add_f32_e32 v15, v113, v15                               // 000000017234: 021E1F71
	v_add_f32_e32 v15, v114, v15                               // 000000017238: 021E1F72
	v_add_f32_e32 v15, v115, v15                               // 00000001723C: 021E1F73
	v_add_f32_e32 v15, v116, v15                               // 000000017240: 021E1F74
	v_add_f32_e32 v15, v117, v15                               // 000000017244: 021E1F75
	v_add_f32_e32 v15, v118, v15                               // 000000017248: 021E1F76
	v_add_f32_e32 v15, v119, v15                               // 00000001724C: 021E1F77
	v_add_f32_e32 v15, v120, v15                               // 000000017250: 021E1F78
	v_add_f32_e32 v15, v121, v15                               // 000000017254: 021E1F79
	v_add_f32_e32 v15, v122, v15                               // 000000017258: 021E1F7A
	v_add_f32_e32 v15, v123, v15                               // 00000001725C: 021E1F7B
	v_add_f32_e32 v15, v124, v15                               // 000000017260: 021E1F7C
	v_add_f32_e32 v15, v125, v15                               // 000000017264: 021E1F7D
	v_add_f32_e32 v15, v126, v15                               // 000000017268: 021E1F7E
	v_add_f32_e32 v15, v127, v15                               // 00000001726C: 021E1F7F
	v_add_f32_e32 v38, v15, v38                                // 000000017270: 024C4D0F
	s_waitcnt lgkmcnt(0)                                       // 000000017274: BF8CC07F
	v_max3_f32 v48, |v64|, |v65|, v48                          // 000000017278: D1D30330 04C28340
	v_max3_f32 v48, |v66|, |v67|, v48                          // 000000017280: D1D30330 04C28742
	v_max3_f32 v48, |v68|, |v69|, v48                          // 000000017288: D1D30330 04C28B44
	v_max3_f32 v48, |v70|, |v71|, v48                          // 000000017290: D1D30330 04C28F46
	v_max3_f32 v48, |v72|, |v73|, v48                          // 000000017298: D1D30330 04C29348
	v_max3_f32 v48, |v74|, |v75|, v48                          // 0000000172A0: D1D30330 04C2974A
	v_max3_f32 v48, |v76|, |v77|, v48                          // 0000000172A8: D1D30330 04C29B4C
	v_max3_f32 v48, |v78|, |v79|, v48                          // 0000000172B0: D1D30330 04C29F4E
	s_nop 2                                                    // 0000000172B8: BF800002
	v_rcp_f32_e32 v48, v48                                     // 0000000172BC: 7E604530
	s_nop 1                                                    // 0000000172C0: BF800001
	v_mul_f32_e32 v48, 0x43e00000, v48                         // 0000000172C4: 0A6060FF 43E00000
	v_mul_f32_e32 v112, v48, v240                              // 0000000172CC: 0AE1E130
	v_mul_f32_e32 v113, v48, v241                              // 0000000172D0: 0AE3E330
	v_mul_f32_e32 v114, v48, v242                              // 0000000172D4: 0AE5E530
	v_mul_f32_e32 v115, v48, v243                              // 0000000172D8: 0AE7E730
	v_mul_f32_e32 v116, v48, v244                              // 0000000172DC: 0AE9E930
	v_mul_f32_e32 v117, v48, v245                              // 0000000172E0: 0AEBEB30
	v_mul_f32_e32 v118, v48, v246                              // 0000000172E4: 0AEDED30
	v_mul_f32_e32 v119, v48, v247                              // 0000000172E8: 0AEFEF30
	v_mul_f32_e32 v120, v48, v248                              // 0000000172EC: 0AF1F130
	v_mul_f32_e32 v121, v48, v249                              // 0000000172F0: 0AF3F330
	v_mul_f32_e32 v122, v48, v250                              // 0000000172F4: 0AF5F530
	v_mul_f32_e32 v123, v48, v251                              // 0000000172F8: 0AF7F730
	v_mul_f32_e32 v124, v48, v252                              // 0000000172FC: 0AF9F930
	v_mul_f32_e32 v125, v48, v253                              // 000000017300: 0AFBFB30
	v_mul_f32_e32 v126, v48, v254                              // 000000017304: 0AFDFD30
	v_mul_f32_e32 v127, v48, v255                              // 000000017308: 0AFFFF30
	v_cvt_pk_fp8_f32 v112, v112, v113                          // 00000001730C: D2A20070 0002E370
	v_cvt_pk_fp8_f32 v112, v114, v115 op_sel:[0,0,1]           // 000000017314: D2A24070 0002E772
	v_cvt_pk_fp8_f32 v113, v116, v117                          // 00000001731C: D2A20071 0002EB74
	v_cvt_pk_fp8_f32 v113, v118, v119 op_sel:[0,0,1]           // 000000017324: D2A24071 0002EF76
	v_cvt_pk_fp8_f32 v114, v120, v121                          // 00000001732C: D2A20072 0002F378
	v_cvt_pk_fp8_f32 v114, v122, v123 op_sel:[0,0,1]           // 000000017334: D2A24072 0002F77A
	v_cvt_pk_fp8_f32 v115, v124, v125                          // 00000001733C: D2A20073 0002FB7C
	v_cvt_pk_fp8_f32 v115, v126, v127 op_sel:[0,0,1]           // 000000017344: D2A24073 0002FF7E
	ds_write_b32 v10, v112 offset:25088                        // 00000001734C: D81A6200 0000700A
	ds_write_b32 v10, v113 offset:26112                        // 000000017354: D81A6600 0000710A
	ds_write_b32 v10, v114 offset:27136                        // 00000001735C: D81A6A00 0000720A
	ds_write_b32 v10, v115 offset:28160                        // 000000017364: D81A6E00 0000730A
	v_add_f32_e32 v208, v208, v176                             // 00000001736C: 03A161D0
	v_add_f32_e32 v209, v209, v177                             // 000000017370: 03A363D1
	v_add_f32_e32 v210, v210, v178                             // 000000017374: 03A565D2
	v_add_f32_e32 v211, v211, v179                             // 000000017378: 03A767D3
	v_add_f32_e32 v212, v212, v180                             // 00000001737C: 03A969D4
	v_add_f32_e32 v213, v213, v181                             // 000000017380: 03AB6BD5
	v_add_f32_e32 v214, v214, v182                             // 000000017384: 03AD6DD6
	v_add_f32_e32 v215, v215, v183                             // 000000017388: 03AF6FD7
	v_rcp_f32_e32 v44, v48                                     // 00000001738C: 7E584530
	s_waitcnt lgkmcnt(0)                                       // 000000017390: BF8CC07F
	s_barrier                                                  // 000000017394: BF8A0000
	ds_read_b64 v[112:113], v9 offset:25088                    // 000000017398: D8EC6200 70000009
	ds_read_b64 v[114:115], v9 offset:25216                    // 0000000173A0: D8EC6280 72000009
	ds_read_b64 v[116:117], v9 offset:26112                    // 0000000173A8: D8EC6600 74000009
	ds_read_b64 v[118:119], v9 offset:26240                    // 0000000173B0: D8EC6680 76000009
	ds_read_b64 v[120:121], v9 offset:27136                    // 0000000173B8: D8EC6A00 78000009
	ds_read_b64 v[122:123], v9 offset:27264                    // 0000000173C0: D8EC6A80 7A000009
	ds_read_b64 v[124:125], v9 offset:28160                    // 0000000173C8: D8EC6E00 7C000009
	ds_read_b64 v[126:127], v9 offset:28288                    // 0000000173D0: D8EC6E80 7E000009
	v_mov_b32_dpp v64, v43 row_shr:4 row_mask:0xf bank_mask:0xf// 0000000173D8: 7E8002FA FF01142B
	v_mov_b32_dpp v65, v43 row_shl:4 row_mask:0xf bank_mask:0xf// 0000000173E0: 7E8202FA FF01042B
	v_cndmask_b32_e64 v248, v43, v64, s[44:45]                 // 0000000173E8: D10000F8 00B2812B
	v_cndmask_b32_e64 v249, v65, v43, s[44:45]                 // 0000000173F0: D10000F9 00B25741
	v_mov_b32_dpp v64, v248 row_shr:8 row_mask:0xf bank_mask:0xf// 0000000173F8: 7E8002FA FF0118F8
	v_mov_b32_dpp v65, v248 row_shl:8 row_mask:0xf bank_mask:0xf// 000000017400: 7E8202FA FF0108F8
	v_mov_b32_dpp v66, v249 row_shr:8 row_mask:0xf bank_mask:0xf// 000000017408: 7E8402FA FF0118F9
	v_mov_b32_dpp v67, v249 row_shl:8 row_mask:0xf bank_mask:0xf// 000000017410: 7E8602FA FF0108F9
	v_mov_b32_e32 v68, v248                                    // 000000017418: 7E8803F8
	v_mov_b32_e32 v69, v249                                    // 00000001741C: 7E8A03F9
	v_cndmask_b32_e64 v248, v68, v64, s[42:43]                 // 000000017420: D10000F8 00AA8144
	v_cndmask_b32_e64 v250, v68, v65, s[78:79]                 // 000000017428: D10000FA 013A8344
	v_cndmask_b32_e64 v249, v69, v66, s[42:43]                 // 000000017430: D10000F9 00AA8545
	v_cndmask_b32_e64 v251, v69, v67, s[78:79]                 // 000000017438: D10000FB 013A8745
	v_mov_b32_dpp v64, v58 row_shr:4 row_mask:0xf bank_mask:0xf// 000000017440: 7E8002FA FF01143A
	v_mov_b32_dpp v65, v58 row_shl:4 row_mask:0xf bank_mask:0xf// 000000017448: 7E8202FA FF01043A
	v_cndmask_b32_e64 v252, v58, v64, s[44:45]                 // 000000017450: D10000FC 00B2813A
	v_cndmask_b32_e64 v253, v65, v58, s[44:45]                 // 000000017458: D10000FD 00B27541
	v_mov_b32_dpp v64, v252 row_shr:8 row_mask:0xf bank_mask:0xf// 000000017460: 7E8002FA FF0118FC
	v_mov_b32_dpp v65, v252 row_shl:8 row_mask:0xf bank_mask:0xf// 000000017468: 7E8202FA FF0108FC
	v_mov_b32_dpp v66, v253 row_shr:8 row_mask:0xf bank_mask:0xf// 000000017470: 7E8402FA FF0118FD
	v_mov_b32_dpp v67, v253 row_shl:8 row_mask:0xf bank_mask:0xf// 000000017478: 7E8602FA FF0108FD
	v_mov_b32_e32 v68, v252                                    // 000000017480: 7E8803FC
	v_mov_b32_e32 v69, v253                                    // 000000017484: 7E8A03FD
	v_cndmask_b32_e64 v252, v68, v64, s[42:43]                 // 000000017488: D10000FC 00AA8144
	v_cndmask_b32_e64 v254, v68, v65, s[78:79]                 // 000000017490: D10000FE 013A8344
	v_cndmask_b32_e64 v253, v69, v66, s[42:43]                 // 000000017498: D10000FD 00AA8545
	v_cndmask_b32_e64 v255, v69, v67, s[78:79]                 // 0000000174A0: D10000FF 013A8745
	v_mul_f32_e32 v128, v19, v128                              // 0000000174A8: 0B010113
	v_mul_f32_e32 v129, v19, v129                              // 0000000174AC: 0B030313
	v_mul_f32_e32 v130, v19, v130                              // 0000000174B0: 0B050513
	v_mul_f32_e32 v131, v19, v131                              // 0000000174B4: 0B070713
	v_mul_f32_e32 v132, v19, v132                              // 0000000174B8: 0B090913
	v_mul_f32_e32 v133, v19, v133                              // 0000000174BC: 0B0B0B13
	v_mul_f32_e32 v134, v19, v134                              // 0000000174C0: 0B0D0D13
	v_mul_f32_e32 v135, v19, v135                              // 0000000174C4: 0B0F0F13
	v_mul_f32_e32 v136, v19, v136                              // 0000000174C8: 0B111113
	v_mul_f32_e32 v137, v19, v137                              // 0000000174CC: 0B131313
	v_mul_f32_e32 v138, v19, v138                              // 0000000174D0: 0B151513
	v_mul_f32_e32 v139, v19, v139                              // 0000000174D4: 0B171713
	v_mul_f32_e32 v140, v19, v140                              // 0000000174D8: 0B191913
	v_mul_f32_e32 v141, v19, v141                              // 0000000174DC: 0B1B1B13
	v_mul_f32_e32 v142, v19, v142                              // 0000000174E0: 0B1D1D13
	v_mul_f32_e32 v143, v19, v143                              // 0000000174E4: 0B1F1F13
	v_mul_f32_dpp v128, v248, v128 quad_perm:[0,0,0,0] row_mask:0xf bank_mask:0xf// 0000000174E8: 0B0100FA FF0000F8
	v_mul_f32_dpp v129, v248, v129 quad_perm:[1,1,1,1] row_mask:0xf bank_mask:0xf// 0000000174F0: 0B0302FA FF0055F8
	v_mul_f32_dpp v130, v248, v130 quad_perm:[2,2,2,2] row_mask:0xf bank_mask:0xf// 0000000174F8: 0B0504FA FF00AAF8
	v_mul_f32_dpp v131, v248, v131 quad_perm:[3,3,3,3] row_mask:0xf bank_mask:0xf// 000000017500: 0B0706FA FF00FFF8
	v_mul_f32_dpp v132, v249, v132 quad_perm:[0,0,0,0] row_mask:0xf bank_mask:0xf// 000000017508: 0B0908FA FF0000F9
	v_mul_f32_dpp v133, v249, v133 quad_perm:[1,1,1,1] row_mask:0xf bank_mask:0xf// 000000017510: 0B0B0AFA FF0055F9
	v_mul_f32_dpp v134, v249, v134 quad_perm:[2,2,2,2] row_mask:0xf bank_mask:0xf// 000000017518: 0B0D0CFA FF00AAF9
	v_mul_f32_dpp v135, v249, v135 quad_perm:[3,3,3,3] row_mask:0xf bank_mask:0xf// 000000017520: 0B0F0EFA FF00FFF9
	v_mul_f32_dpp v136, v250, v136 quad_perm:[0,0,0,0] row_mask:0xf bank_mask:0xf// 000000017528: 0B1110FA FF0000FA
	v_mul_f32_dpp v137, v250, v137 quad_perm:[1,1,1,1] row_mask:0xf bank_mask:0xf// 000000017530: 0B1312FA FF0055FA
	v_mul_f32_dpp v138, v250, v138 quad_perm:[2,2,2,2] row_mask:0xf bank_mask:0xf// 000000017538: 0B1514FA FF00AAFA
	v_mul_f32_dpp v139, v250, v139 quad_perm:[3,3,3,3] row_mask:0xf bank_mask:0xf// 000000017540: 0B1716FA FF00FFFA
	v_mul_f32_dpp v140, v251, v140 quad_perm:[0,0,0,0] row_mask:0xf bank_mask:0xf// 000000017548: 0B1918FA FF0000FB
	v_mul_f32_dpp v141, v251, v141 quad_perm:[1,1,1,1] row_mask:0xf bank_mask:0xf// 000000017550: 0B1B1AFA FF0055FB
	v_mul_f32_dpp v142, v251, v142 quad_perm:[2,2,2,2] row_mask:0xf bank_mask:0xf// 000000017558: 0B1D1CFA FF00AAFB
	v_mul_f32_dpp v143, v251, v143 quad_perm:[3,3,3,3] row_mask:0xf bank_mask:0xf// 000000017560: 0B1F1EFA FF00FFFB
	s_and_b32 s60, s72, 0xff                                   // 000000017568: 863CFF48 000000FF
	v_mov_b32_e32 v65, s60                                     // 000000017570: 7E82023C
	v_lshrrev_b32_e32 v240, 4, v0                              // 000000017574: 21E00084
	v_mul_i32_i24_e32 v240, 4, v240                            // 000000017578: 0DE1E084
	s_mul_i32 s60, s7, 16                                      // 00000001757C: 923C9007
	v_add_u32_e32 v240, s60, v240                              // 000000017580: 69E1E03C
	v_add_u32_e32 v241, 1, v240                                // 000000017584: 69E3E081
	v_add_u32_e32 v242, 2, v240                                // 000000017588: 69E5E082
	v_add_u32_e32 v243, 3, v240                                // 00000001758C: 69E7E083
	v_mov_b32_e32 v64, 0xff800000                              // 000000017590: 7E8002FF FF800000
	v_cmp_lt_u32_e64 s[40:41], v240, v65                       // 000000017598: D0C90028 000283F0
	v_add_u32_e32 v240, 64, v240                               // 0000000175A0: 69E1E0C0
	s_nop 0                                                    // 0000000175A4: BF800000
	v_cndmask_b32_e64 v128, v64, v128, s[40:41]                // 0000000175A8: D1000080 00A30140
	v_cmp_lt_u32_e64 s[40:41], v241, v65                       // 0000000175B0: D0C90028 000283F1
	v_add_u32_e32 v241, 64, v241                               // 0000000175B8: 69E3E2C0
	s_nop 0                                                    // 0000000175BC: BF800000
	v_cndmask_b32_e64 v129, v64, v129, s[40:41]                // 0000000175C0: D1000081 00A30340
	v_cmp_lt_u32_e64 s[40:41], v242, v65                       // 0000000175C8: D0C90028 000283F2
	v_add_u32_e32 v242, 64, v242                               // 0000000175D0: 69E5E4C0
	s_nop 0                                                    // 0000000175D4: BF800000
	v_cndmask_b32_e64 v130, v64, v130, s[40:41]                // 0000000175D8: D1000082 00A30540
	v_cmp_lt_u32_e64 s[40:41], v243, v65                       // 0000000175E0: D0C90028 000283F3
	v_add_u32_e32 v243, 64, v243                               // 0000000175E8: 69E7E6C0
	s_nop 0                                                    // 0000000175EC: BF800000
	v_cndmask_b32_e64 v131, v64, v131, s[40:41]                // 0000000175F0: D1000083 00A30740
	v_cmp_lt_u32_e64 s[40:41], v240, v65                       // 0000000175F8: D0C90028 000283F0
	v_add_u32_e32 v240, 64, v240                               // 000000017600: 69E1E0C0
	s_nop 0                                                    // 000000017604: BF800000
	v_cndmask_b32_e64 v132, v64, v132, s[40:41]                // 000000017608: D1000084 00A30940
	v_cmp_lt_u32_e64 s[40:41], v241, v65                       // 000000017610: D0C90028 000283F1
	v_add_u32_e32 v241, 64, v241                               // 000000017618: 69E3E2C0
	s_nop 0                                                    // 00000001761C: BF800000
	v_cndmask_b32_e64 v133, v64, v133, s[40:41]                // 000000017620: D1000085 00A30B40
	v_cmp_lt_u32_e64 s[40:41], v242, v65                       // 000000017628: D0C90028 000283F2
	v_add_u32_e32 v242, 64, v242                               // 000000017630: 69E5E4C0
	s_nop 0                                                    // 000000017634: BF800000
	v_cndmask_b32_e64 v134, v64, v134, s[40:41]                // 000000017638: D1000086 00A30D40
	v_cmp_lt_u32_e64 s[40:41], v243, v65                       // 000000017640: D0C90028 000283F3
	v_add_u32_e32 v243, 64, v243                               // 000000017648: 69E7E6C0
	s_nop 0                                                    // 00000001764C: BF800000
	v_cndmask_b32_e64 v135, v64, v135, s[40:41]                // 000000017650: D1000087 00A30F40
	v_cmp_lt_u32_e64 s[40:41], v240, v65                       // 000000017658: D0C90028 000283F0
	v_add_u32_e32 v240, 64, v240                               // 000000017660: 69E1E0C0
	s_nop 0                                                    // 000000017664: BF800000
	v_cndmask_b32_e64 v136, v64, v136, s[40:41]                // 000000017668: D1000088 00A31140
	v_cmp_lt_u32_e64 s[40:41], v241, v65                       // 000000017670: D0C90028 000283F1
	v_add_u32_e32 v241, 64, v241                               // 000000017678: 69E3E2C0
	s_nop 0                                                    // 00000001767C: BF800000
	v_cndmask_b32_e64 v137, v64, v137, s[40:41]                // 000000017680: D1000089 00A31340
	v_cmp_lt_u32_e64 s[40:41], v242, v65                       // 000000017688: D0C90028 000283F2
	v_add_u32_e32 v242, 64, v242                               // 000000017690: 69E5E4C0
	s_nop 0                                                    // 000000017694: BF800000
	v_cndmask_b32_e64 v138, v64, v138, s[40:41]                // 000000017698: D100008A 00A31540
	v_cmp_lt_u32_e64 s[40:41], v243, v65                       // 0000000176A0: D0C90028 000283F3
	v_add_u32_e32 v243, 64, v243                               // 0000000176A8: 69E7E6C0
	s_nop 0                                                    // 0000000176AC: BF800000
	v_cndmask_b32_e64 v139, v64, v139, s[40:41]                // 0000000176B0: D100008B 00A31740
	v_cmp_lt_u32_e64 s[40:41], v240, v65                       // 0000000176B8: D0C90028 000283F0
	v_add_u32_e32 v240, 64, v240                               // 0000000176C0: 69E1E0C0
	s_nop 0                                                    // 0000000176C4: BF800000
	v_cndmask_b32_e64 v140, v64, v140, s[40:41]                // 0000000176C8: D100008C 00A31940
	v_cmp_lt_u32_e64 s[40:41], v241, v65                       // 0000000176D0: D0C90028 000283F1
	v_add_u32_e32 v241, 64, v241                               // 0000000176D8: 69E3E2C0
	s_nop 0                                                    // 0000000176DC: BF800000
	v_cndmask_b32_e64 v141, v64, v141, s[40:41]                // 0000000176E0: D100008D 00A31B40
	v_cmp_lt_u32_e64 s[40:41], v242, v65                       // 0000000176E8: D0C90028 000283F2
	v_add_u32_e32 v242, 64, v242                               // 0000000176F0: 69E5E4C0
	s_nop 0                                                    // 0000000176F4: BF800000
	v_cndmask_b32_e64 v142, v64, v142, s[40:41]                // 0000000176F8: D100008E 00A31D40
	v_cmp_lt_u32_e64 s[40:41], v243, v65                       // 000000017700: D0C90028 000283F3
	v_add_u32_e32 v243, 64, v243                               // 000000017708: 69E7E6C0
	s_nop 0                                                    // 00000001770C: BF800000
	v_cndmask_b32_e64 v143, v64, v143, s[40:41]                // 000000017710: D100008F 00A31F40
	v_mov_b32_e32 v48, v128                                    // 000000017718: 7E600380
	v_max3_f32 v48, v128, v129, v48                            // 00000001771C: D1D30030 04C30380
	v_max3_f32 v48, v130, v131, v48                            // 000000017724: D1D30030 04C30782
	v_max3_f32 v48, v132, v133, v48                            // 00000001772C: D1D30030 04C30B84
	v_max3_f32 v48, v134, v135, v48                            // 000000017734: D1D30030 04C30F86
	v_max3_f32 v48, v136, v137, v48                            // 00000001773C: D1D30030 04C31388
	v_max3_f32 v48, v138, v139, v48                            // 000000017744: D1D30030 04C3178A
	v_max3_f32 v48, v140, v141, v48                            // 00000001774C: D1D30030 04C31B8C
	v_max3_f32 v48, v142, v143, v48                            // 000000017754: D1D30030 04C31F8E
	ds_write_b32 v8, v48 offset:16896                          // 00000001775C: D81A4200 00003008
	v_mul_f32_e32 v216, v50, v216                              // 000000017764: 0BB1B132
	v_mul_f32_e32 v217, v50, v217                              // 000000017768: 0BB3B332
	v_mul_f32_e32 v218, v50, v218                              // 00000001776C: 0BB5B532
	v_mul_f32_e32 v219, v50, v219                              // 000000017770: 0BB7B732
	v_mul_f32_e32 v220, v50, v220                              // 000000017774: 0BB9B932
	v_mul_f32_e32 v221, v50, v221                              // 000000017778: 0BBBBB32
	v_mul_f32_e32 v222, v50, v222                              // 00000001777C: 0BBDBD32
	v_mul_f32_e32 v223, v50, v223                              // 000000017780: 0BBFBF32
	s_waitcnt lgkmcnt(0)                                       // 000000017784: BF8CC07F
	s_barrier                                                  // 000000017788: BF8A0000
	ds_read_b32 v64, v7 offset:16896                           // 00000001778C: D86C4200 40000007
	ds_read_b32 v65, v7 offset:16960                           // 000000017794: D86C4240 41000007
	ds_read_b32 v66, v7 offset:17024                           // 00000001779C: D86C4280 42000007
	ds_read_b32 v67, v7 offset:17088                           // 0000000177A4: D86C42C0 43000007
	ds_read_b32 v68, v7 offset:17152                           // 0000000177AC: D86C4300 44000007
	ds_read_b32 v69, v7 offset:17216                           // 0000000177B4: D86C4340 45000007
	ds_read_b32 v70, v7 offset:17280                           // 0000000177BC: D86C4380 46000007
	ds_read_b32 v71, v7 offset:17344                           // 0000000177C4: D86C43C0 47000007
	ds_read_b32 v72, v7 offset:17408                           // 0000000177CC: D86C4400 48000007
	ds_read_b32 v73, v7 offset:17472                           // 0000000177D4: D86C4440 49000007
	ds_read_b32 v74, v7 offset:17536                           // 0000000177DC: D86C4480 4A000007
	ds_read_b32 v75, v7 offset:17600                           // 0000000177E4: D86C44C0 4B000007
	ds_read_b32 v76, v7 offset:17664                           // 0000000177EC: D86C4500 4C000007
	ds_read_b32 v77, v7 offset:17728                           // 0000000177F4: D86C4540 4D000007
	ds_read_b32 v78, v7 offset:17792                           // 0000000177FC: D86C4580 4E000007
	ds_read_b32 v79, v7 offset:17856                           // 000000017804: D86C45C0 4F000007
	v_mul_f32_e32 v184, v45, v184                              // 00000001780C: 0B71712D
	v_mul_f32_e32 v185, v45, v185                              // 000000017810: 0B73732D
	v_mul_f32_e32 v186, v45, v186                              // 000000017814: 0B75752D
	v_mul_f32_e32 v187, v45, v187                              // 000000017818: 0B77772D
	v_mul_f32_e32 v188, v45, v188                              // 00000001781C: 0B79792D
	v_mul_f32_e32 v189, v45, v189                              // 000000017820: 0B7B7B2D
	v_mul_f32_e32 v190, v45, v190                              // 000000017824: 0B7D7D2D
	v_mul_f32_e32 v191, v45, v191                              // 000000017828: 0B7F7F2D
	s_waitcnt lgkmcnt(0)                                       // 00000001782C: BF8CC07F
	v_max3_f32 v48, v64, v65, v48                              // 000000017830: D1D30030 04C28340
	v_max3_f32 v48, v66, v67, v48                              // 000000017838: D1D30030 04C28742
	v_max3_f32 v48, v68, v69, v48                              // 000000017840: D1D30030 04C28B44
	v_max3_f32 v48, v70, v71, v48                              // 000000017848: D1D30030 04C28F46
	v_max3_f32 v48, v72, v73, v48                              // 000000017850: D1D30030 04C29348
	v_max3_f32 v48, v74, v75, v48                              // 000000017858: D1D30030 04C2974A
	v_max3_f32 v48, v76, v77, v48                              // 000000017860: D1D30030 04C29B4C
	v_max3_f32 v48, v78, v79, v48                              // 000000017868: D1D30030 04C29F4E
	v_mov_b32_e32 v64, 0xff800000                              // 000000017870: 7E8002FF FF800000
	v_cmp_eq_u32_e64 s[40:41], v64, v12                        // 000000017878: D0CA0028 00021940
	s_nop 1                                                    // 000000017880: BF800001
	v_max_f32_e32 v15, v48, v12                                // 000000017884: 161E1930
	v_mul_f32_e32 v53, s64, v15                                // 000000017888: 0A6A1E40
	v_fma_f32 v128, v128, s64, -v53                            // 00000001788C: D1CB0080 84D48180
	v_fma_f32 v129, v129, s64, -v53                            // 000000017894: D1CB0081 84D48181
	v_fma_f32 v130, v130, s64, -v53                            // 00000001789C: D1CB0082 84D48182
	v_fma_f32 v131, v131, s64, -v53                            // 0000000178A4: D1CB0083 84D48183
	v_fma_f32 v132, v132, s64, -v53                            // 0000000178AC: D1CB0084 84D48184
	v_fma_f32 v133, v133, s64, -v53                            // 0000000178B4: D1CB0085 84D48185
	v_fma_f32 v134, v134, s64, -v53                            // 0000000178BC: D1CB0086 84D48186
	v_fma_f32 v135, v135, s64, -v53                            // 0000000178C4: D1CB0087 84D48187
	v_fma_f32 v136, v136, s64, -v53                            // 0000000178CC: D1CB0088 84D48188
	v_fma_f32 v137, v137, s64, -v53                            // 0000000178D4: D1CB0089 84D48189
	v_fma_f32 v138, v138, s64, -v53                            // 0000000178DC: D1CB008A 84D4818A
	v_fma_f32 v139, v139, s64, -v53                            // 0000000178E4: D1CB008B 84D4818B
	v_fma_f32 v140, v140, s64, -v53                            // 0000000178EC: D1CB008C 84D4818C
	v_fma_f32 v141, v141, s64, -v53                            // 0000000178F4: D1CB008D 84D4818D
	v_fma_f32 v142, v142, s64, -v53                            // 0000000178FC: D1CB008E 84D4818E
	v_fma_f32 v143, v143, s64, -v53                            // 000000017904: D1CB008F 84D4818F
	v_exp_f32_e32 v128, v128                                   // 00000001790C: 7F004180
	v_exp_f32_e32 v129, v129                                   // 000000017910: 7F024181
	v_exp_f32_e32 v130, v130                                   // 000000017914: 7F044182
	v_exp_f32_e32 v131, v131                                   // 000000017918: 7F064183
	v_exp_f32_e32 v132, v132                                   // 00000001791C: 7F084184
	v_exp_f32_e32 v133, v133                                   // 000000017920: 7F0A4185
	v_exp_f32_e32 v134, v134                                   // 000000017924: 7F0C4186
	v_exp_f32_e32 v135, v135                                   // 000000017928: 7F0E4187
	v_exp_f32_e32 v136, v136                                   // 00000001792C: 7F104188
	v_exp_f32_e32 v137, v137                                   // 000000017930: 7F124189
	v_exp_f32_e32 v138, v138                                   // 000000017934: 7F14418A
	v_exp_f32_e32 v139, v139                                   // 000000017938: 7F16418B
	v_exp_f32_e32 v140, v140                                   // 00000001793C: 7F18418C
	v_exp_f32_e32 v141, v141                                   // 000000017940: 7F1A418D
	v_exp_f32_e32 v142, v142                                   // 000000017944: 7F1C418E
	v_exp_f32_e32 v143, v143                                   // 000000017948: 7F1E418F
	v_mul_f32_dpp v240, v252, v128 quad_perm:[0,0,0,0] row_mask:0xf bank_mask:0xf// 00000001794C: 0BE100FA FF0000FC
	v_mul_f32_dpp v241, v252, v129 quad_perm:[1,1,1,1] row_mask:0xf bank_mask:0xf// 000000017954: 0BE302FA FF0055FC
	v_mul_f32_dpp v242, v252, v130 quad_perm:[2,2,2,2] row_mask:0xf bank_mask:0xf// 00000001795C: 0BE504FA FF00AAFC
	v_mul_f32_dpp v243, v252, v131 quad_perm:[3,3,3,3] row_mask:0xf bank_mask:0xf// 000000017964: 0BE706FA FF00FFFC
	v_mul_f32_dpp v244, v253, v132 quad_perm:[0,0,0,0] row_mask:0xf bank_mask:0xf// 00000001796C: 0BE908FA FF0000FD
	v_mul_f32_dpp v245, v253, v133 quad_perm:[1,1,1,1] row_mask:0xf bank_mask:0xf// 000000017974: 0BEB0AFA FF0055FD
	v_mul_f32_dpp v246, v253, v134 quad_perm:[2,2,2,2] row_mask:0xf bank_mask:0xf// 00000001797C: 0BED0CFA FF00AAFD
	v_mul_f32_dpp v247, v253, v135 quad_perm:[3,3,3,3] row_mask:0xf bank_mask:0xf// 000000017984: 0BEF0EFA FF00FFFD
	v_mul_f32_dpp v248, v254, v136 quad_perm:[0,0,0,0] row_mask:0xf bank_mask:0xf// 00000001798C: 0BF110FA FF0000FE
	v_mul_f32_dpp v249, v254, v137 quad_perm:[1,1,1,1] row_mask:0xf bank_mask:0xf// 000000017994: 0BF312FA FF0055FE
	v_mul_f32_dpp v250, v254, v138 quad_perm:[2,2,2,2] row_mask:0xf bank_mask:0xf// 00000001799C: 0BF514FA FF00AAFE
	v_mul_f32_dpp v251, v254, v139 quad_perm:[3,3,3,3] row_mask:0xf bank_mask:0xf// 0000000179A4: 0BF716FA FF00FFFE
	v_mul_f32_dpp v252, v255, v140 quad_perm:[0,0,0,0] row_mask:0xf bank_mask:0xf// 0000000179AC: 0BF918FA FF0000FF
	v_mul_f32_dpp v253, v255, v141 quad_perm:[1,1,1,1] row_mask:0xf bank_mask:0xf// 0000000179B4: 0BFB1AFA FF0055FF
	v_mul_f32_dpp v254, v255, v142 quad_perm:[2,2,2,2] row_mask:0xf bank_mask:0xf// 0000000179BC: 0BFD1CFA FF00AAFF
	v_mul_f32_dpp v255, v255, v143 quad_perm:[3,3,3,3] row_mask:0xf bank_mask:0xf// 0000000179C4: 0BFF1EFA FF00FFFF
	v_mov_b32_e32 v48, 0x358637bd                              // 0000000179CC: 7E6002FF 358637BD
	v_max3_f32 v48, |v240|, |v241|, v48                        // 0000000179D4: D1D30330 04C3E3F0
	v_max3_f32 v48, |v242|, |v243|, v48                        // 0000000179DC: D1D30330 04C3E7F2
	v_max3_f32 v48, |v244|, |v245|, v48                        // 0000000179E4: D1D30330 04C3EBF4
	v_max3_f32 v48, |v246|, |v247|, v48                        // 0000000179EC: D1D30330 04C3EFF6
	v_max3_f32 v48, |v248|, |v249|, v48                        // 0000000179F4: D1D30330 04C3F3F8
	v_max3_f32 v48, |v250|, |v251|, v48                        // 0000000179FC: D1D30330 04C3F7FA
	v_max3_f32 v48, |v252|, |v253|, v48                        // 000000017A04: D1D30330 04C3FBFC
	v_max3_f32 v48, |v254|, |v255|, v48                        // 000000017A0C: D1D30330 04C3FFFE
	ds_write_b32 v8, v48 offset:20992                          // 000000017A14: D81A5200 00003008
	v_sub_f32_e32 v50, v12, v15                                // 000000017A1C: 04641F0C
	v_cndmask_b32_e64 v50, v50, 0, s[40:41]                    // 000000017A20: D1000032 00A10132
	v_mov_b32_e32 v12, v15                                     // 000000017A28: 7E18030F
	v_mul_f32_e32 v50, s64, v50                                // 000000017A2C: 0A646440
	v_exp_f32_e32 v50, v50                                     // 000000017A30: 7E644132
	s_waitcnt lgkmcnt(0)                                       // 000000017A34: BF8CC07F
	s_barrier                                                  // 000000017A38: BF8A0000
	ds_read_b32 v64, v7 offset:20992                           // 000000017A3C: D86C5200 40000007
	ds_read_b32 v65, v7 offset:21056                           // 000000017A44: D86C5240 41000007
	ds_read_b32 v66, v7 offset:21120                           // 000000017A4C: D86C5280 42000007
	ds_read_b32 v67, v7 offset:21184                           // 000000017A54: D86C52C0 43000007
	ds_read_b32 v68, v7 offset:21248                           // 000000017A5C: D86C5300 44000007
	ds_read_b32 v69, v7 offset:21312                           // 000000017A64: D86C5340 45000007
	ds_read_b32 v70, v7 offset:21376                           // 000000017A6C: D86C5380 46000007
	ds_read_b32 v71, v7 offset:21440                           // 000000017A74: D86C53C0 47000007
	ds_read_b32 v72, v7 offset:21504                           // 000000017A7C: D86C5400 48000007
	ds_read_b32 v73, v7 offset:21568                           // 000000017A84: D86C5440 49000007
	ds_read_b32 v74, v7 offset:21632                           // 000000017A8C: D86C5480 4A000007
	ds_read_b32 v75, v7 offset:21696                           // 000000017A94: D86C54C0 4B000007
	ds_read_b32 v76, v7 offset:21760                           // 000000017A9C: D86C5500 4C000007
	ds_read_b32 v77, v7 offset:21824                           // 000000017AA4: D86C5540 4D000007
	ds_read_b32 v78, v7 offset:21888                           // 000000017AAC: D86C5580 4E000007
	ds_read_b32 v79, v7 offset:21952                           // 000000017AB4: D86C55C0 4F000007
	v_mul_f32_e32 v39, v50, v39                                // 000000017ABC: 0A4E4F32
	v_mov_b32_e32 v15, v128                                    // 000000017AC0: 7E1E0380
	v_add_f32_e32 v15, v129, v15                               // 000000017AC4: 021E1F81
	v_add_f32_e32 v15, v130, v15                               // 000000017AC8: 021E1F82
	v_add_f32_e32 v15, v131, v15                               // 000000017ACC: 021E1F83
	v_add_f32_e32 v15, v132, v15                               // 000000017AD0: 021E1F84
	v_add_f32_e32 v15, v133, v15                               // 000000017AD4: 021E1F85
	v_add_f32_e32 v15, v134, v15                               // 000000017AD8: 021E1F86
	v_add_f32_e32 v15, v135, v15                               // 000000017ADC: 021E1F87
	v_add_f32_e32 v15, v136, v15                               // 000000017AE0: 021E1F88
	v_add_f32_e32 v15, v137, v15                               // 000000017AE4: 021E1F89
	v_add_f32_e32 v15, v138, v15                               // 000000017AE8: 021E1F8A
	v_add_f32_e32 v15, v139, v15                               // 000000017AEC: 021E1F8B
	v_add_f32_e32 v15, v140, v15                               // 000000017AF0: 021E1F8C
	v_add_f32_e32 v15, v141, v15                               // 000000017AF4: 021E1F8D
	v_add_f32_e32 v15, v142, v15                               // 000000017AF8: 021E1F8E
	v_add_f32_e32 v15, v143, v15                               // 000000017AFC: 021E1F8F
	v_add_f32_e32 v39, v15, v39                                // 000000017B00: 024E4F0F
	s_waitcnt lgkmcnt(0)                                       // 000000017B04: BF8CC07F
	v_max3_f32 v48, |v64|, |v65|, v48                          // 000000017B08: D1D30330 04C28340
	v_max3_f32 v48, |v66|, |v67|, v48                          // 000000017B10: D1D30330 04C28742
	v_max3_f32 v48, |v68|, |v69|, v48                          // 000000017B18: D1D30330 04C28B44
	v_max3_f32 v48, |v70|, |v71|, v48                          // 000000017B20: D1D30330 04C28F46
	v_max3_f32 v48, |v72|, |v73|, v48                          // 000000017B28: D1D30330 04C29348
	v_max3_f32 v48, |v74|, |v75|, v48                          // 000000017B30: D1D30330 04C2974A
	v_max3_f32 v48, |v76|, |v77|, v48                          // 000000017B38: D1D30330 04C29B4C
	v_max3_f32 v48, |v78|, |v79|, v48                          // 000000017B40: D1D30330 04C29F4E
	s_nop 2                                                    // 000000017B48: BF800002
	v_rcp_f32_e32 v48, v48                                     // 000000017B4C: 7E604530
	s_nop 1                                                    // 000000017B50: BF800001
	v_mul_f32_e32 v48, 0x43e00000, v48                         // 000000017B54: 0A6060FF 43E00000
	v_mul_f32_e32 v128, v48, v240                              // 000000017B5C: 0B01E130
	v_mul_f32_e32 v129, v48, v241                              // 000000017B60: 0B03E330
	v_mul_f32_e32 v130, v48, v242                              // 000000017B64: 0B05E530
	v_mul_f32_e32 v131, v48, v243                              // 000000017B68: 0B07E730
	v_mul_f32_e32 v132, v48, v244                              // 000000017B6C: 0B09E930
	v_mul_f32_e32 v133, v48, v245                              // 000000017B70: 0B0BEB30
	v_mul_f32_e32 v134, v48, v246                              // 000000017B74: 0B0DED30
	v_mul_f32_e32 v135, v48, v247                              // 000000017B78: 0B0FEF30
	v_mul_f32_e32 v136, v48, v248                              // 000000017B7C: 0B11F130
	v_mul_f32_e32 v137, v48, v249                              // 000000017B80: 0B13F330
	v_mul_f32_e32 v138, v48, v250                              // 000000017B84: 0B15F530
	v_mul_f32_e32 v139, v48, v251                              // 000000017B88: 0B17F730
	v_mul_f32_e32 v140, v48, v252                              // 000000017B8C: 0B19F930
	v_mul_f32_e32 v141, v48, v253                              // 000000017B90: 0B1BFB30
	v_mul_f32_e32 v142, v48, v254                              // 000000017B94: 0B1DFD30
	v_mul_f32_e32 v143, v48, v255                              // 000000017B98: 0B1FFF30
	v_cvt_pk_fp8_f32 v128, v128, v129                          // 000000017B9C: D2A20080 00030380
	v_cvt_pk_fp8_f32 v128, v130, v131 op_sel:[0,0,1]           // 000000017BA4: D2A24080 00030782
	v_cvt_pk_fp8_f32 v129, v132, v133                          // 000000017BAC: D2A20081 00030B84
	v_cvt_pk_fp8_f32 v129, v134, v135 op_sel:[0,0,1]           // 000000017BB4: D2A24081 00030F86
	v_cvt_pk_fp8_f32 v130, v136, v137                          // 000000017BBC: D2A20082 00031388
	v_cvt_pk_fp8_f32 v130, v138, v139 op_sel:[0,0,1]           // 000000017BC4: D2A24082 0003178A
	v_cvt_pk_fp8_f32 v131, v140, v141                          // 000000017BCC: D2A20083 00031B8C
	v_cvt_pk_fp8_f32 v131, v142, v143 op_sel:[0,0,1]           // 000000017BD4: D2A24083 00031F8E
	ds_write_b32 v10, v128 offset:29184                        // 000000017BDC: D81A7200 0000800A
	ds_write_b32 v10, v129 offset:30208                        // 000000017BE4: D81A7600 0000810A
	ds_write_b32 v10, v130 offset:31232                        // 000000017BEC: D81A7A00 0000820A
	ds_write_b32 v10, v131 offset:32256                        // 000000017BF4: D81A7E00 0000830A
	v_add_f32_e32 v216, v216, v184                             // 000000017BFC: 03B171D8
	v_add_f32_e32 v217, v217, v185                             // 000000017C00: 03B373D9
	v_add_f32_e32 v218, v218, v186                             // 000000017C04: 03B575DA
	v_add_f32_e32 v219, v219, v187                             // 000000017C08: 03B777DB
	v_add_f32_e32 v220, v220, v188                             // 000000017C0C: 03B979DC
	v_add_f32_e32 v221, v221, v189                             // 000000017C10: 03BB7BDD
	v_add_f32_e32 v222, v222, v190                             // 000000017C14: 03BD7DDE
	v_add_f32_e32 v223, v223, v191                             // 000000017C18: 03BF7FDF
	v_rcp_f32_e32 v45, v48                                     // 000000017C1C: 7E5A4530
	s_waitcnt lgkmcnt(0)                                       // 000000017C20: BF8CC07F
	s_barrier                                                  // 000000017C24: BF8A0000
	ds_read_b64 v[128:129], v9 offset:29184                    // 000000017C28: D8EC7200 80000009
	ds_read_b64 v[130:131], v9 offset:29312                    // 000000017C30: D8EC7280 82000009
	ds_read_b64 v[132:133], v9 offset:30208                    // 000000017C38: D8EC7600 84000009
	ds_read_b64 v[134:135], v9 offset:30336                    // 000000017C40: D8EC7680 86000009
	ds_read_b64 v[136:137], v9 offset:31232                    // 000000017C48: D8EC7A00 88000009
	ds_read_b64 v[138:139], v9 offset:31360                    // 000000017C50: D8EC7A80 8A000009
	ds_read_b64 v[140:141], v9 offset:32256                    // 000000017C58: D8EC7E00 8C000009
	ds_read_b64 v[142:143], v9 offset:32384                    // 000000017C60: D8EC7E80 8E000009
	v_mov_b32_dpp v64, v43 row_shr:4 row_mask:0xf bank_mask:0xf// 000000017C68: 7E8002FA FF01142B
	v_mov_b32_dpp v65, v43 row_shl:4 row_mask:0xf bank_mask:0xf// 000000017C70: 7E8202FA FF01042B
	v_cndmask_b32_e64 v248, v43, v64, s[44:45]                 // 000000017C78: D10000F8 00B2812B
	v_cndmask_b32_e64 v249, v65, v43, s[44:45]                 // 000000017C80: D10000F9 00B25741
	v_mov_b32_dpp v64, v248 row_shr:8 row_mask:0xf bank_mask:0xf// 000000017C88: 7E8002FA FF0118F8
	v_mov_b32_dpp v65, v248 row_shl:8 row_mask:0xf bank_mask:0xf// 000000017C90: 7E8202FA FF0108F8
	v_mov_b32_dpp v66, v249 row_shr:8 row_mask:0xf bank_mask:0xf// 000000017C98: 7E8402FA FF0118F9
	v_mov_b32_dpp v67, v249 row_shl:8 row_mask:0xf bank_mask:0xf// 000000017CA0: 7E8602FA FF0108F9
	v_mov_b32_e32 v68, v248                                    // 000000017CA8: 7E8803F8
	v_mov_b32_e32 v69, v249                                    // 000000017CAC: 7E8A03F9
	v_cndmask_b32_e64 v248, v68, v64, s[42:43]                 // 000000017CB0: D10000F8 00AA8144
	v_cndmask_b32_e64 v250, v68, v65, s[78:79]                 // 000000017CB8: D10000FA 013A8344
	v_cndmask_b32_e64 v249, v69, v66, s[42:43]                 // 000000017CC0: D10000F9 00AA8545
	v_cndmask_b32_e64 v251, v69, v67, s[78:79]                 // 000000017CC8: D10000FB 013A8745
	v_mov_b32_dpp v64, v58 row_shr:4 row_mask:0xf bank_mask:0xf// 000000017CD0: 7E8002FA FF01143A
	v_mov_b32_dpp v65, v58 row_shl:4 row_mask:0xf bank_mask:0xf// 000000017CD8: 7E8202FA FF01043A
	v_cndmask_b32_e64 v252, v58, v64, s[44:45]                 // 000000017CE0: D10000FC 00B2813A
	v_cndmask_b32_e64 v253, v65, v58, s[44:45]                 // 000000017CE8: D10000FD 00B27541
	v_mov_b32_dpp v64, v252 row_shr:8 row_mask:0xf bank_mask:0xf// 000000017CF0: 7E8002FA FF0118FC
	v_mov_b32_dpp v65, v252 row_shl:8 row_mask:0xf bank_mask:0xf// 000000017CF8: 7E8202FA FF0108FC
	v_mov_b32_dpp v66, v253 row_shr:8 row_mask:0xf bank_mask:0xf// 000000017D00: 7E8402FA FF0118FD
	v_mov_b32_dpp v67, v253 row_shl:8 row_mask:0xf bank_mask:0xf// 000000017D08: 7E8602FA FF0108FD
	v_mov_b32_e32 v68, v252                                    // 000000017D10: 7E8803FC
	v_mov_b32_e32 v69, v253                                    // 000000017D14: 7E8A03FD
	v_cndmask_b32_e64 v252, v68, v64, s[42:43]                 // 000000017D18: D10000FC 00AA8144
	v_cndmask_b32_e64 v254, v68, v65, s[78:79]                 // 000000017D20: D10000FE 013A8344
	v_cndmask_b32_e64 v253, v69, v66, s[42:43]                 // 000000017D28: D10000FD 00AA8545
	v_cndmask_b32_e64 v255, v69, v67, s[78:79]                 // 000000017D30: D10000FF 013A8745
	v_mul_f32_e32 v144, v20, v144                              // 000000017D38: 0B212114
	v_mul_f32_e32 v145, v20, v145                              // 000000017D3C: 0B232314
	v_mul_f32_e32 v146, v20, v146                              // 000000017D40: 0B252514
	v_mul_f32_e32 v147, v20, v147                              // 000000017D44: 0B272714
	v_mul_f32_e32 v148, v20, v148                              // 000000017D48: 0B292914
	v_mul_f32_e32 v149, v20, v149                              // 000000017D4C: 0B2B2B14
	v_mul_f32_e32 v150, v20, v150                              // 000000017D50: 0B2D2D14
	v_mul_f32_e32 v151, v20, v151                              // 000000017D54: 0B2F2F14
	v_mul_f32_e32 v152, v20, v152                              // 000000017D58: 0B313114
	v_mul_f32_e32 v153, v20, v153                              // 000000017D5C: 0B333314
	v_mul_f32_e32 v154, v20, v154                              // 000000017D60: 0B353514
	v_mul_f32_e32 v155, v20, v155                              // 000000017D64: 0B373714
	v_mul_f32_e32 v156, v20, v156                              // 000000017D68: 0B393914
	v_mul_f32_e32 v157, v20, v157                              // 000000017D6C: 0B3B3B14
	v_mul_f32_e32 v158, v20, v158                              // 000000017D70: 0B3D3D14
	v_mul_f32_e32 v159, v20, v159                              // 000000017D74: 0B3F3F14
	v_mul_f32_dpp v144, v248, v144 quad_perm:[0,0,0,0] row_mask:0xf bank_mask:0xf// 000000017D78: 0B2120FA FF0000F8
	v_mul_f32_dpp v145, v248, v145 quad_perm:[1,1,1,1] row_mask:0xf bank_mask:0xf// 000000017D80: 0B2322FA FF0055F8
	v_mul_f32_dpp v146, v248, v146 quad_perm:[2,2,2,2] row_mask:0xf bank_mask:0xf// 000000017D88: 0B2524FA FF00AAF8
	v_mul_f32_dpp v147, v248, v147 quad_perm:[3,3,3,3] row_mask:0xf bank_mask:0xf// 000000017D90: 0B2726FA FF00FFF8
	v_mul_f32_dpp v148, v249, v148 quad_perm:[0,0,0,0] row_mask:0xf bank_mask:0xf// 000000017D98: 0B2928FA FF0000F9
	v_mul_f32_dpp v149, v249, v149 quad_perm:[1,1,1,1] row_mask:0xf bank_mask:0xf// 000000017DA0: 0B2B2AFA FF0055F9
	v_mul_f32_dpp v150, v249, v150 quad_perm:[2,2,2,2] row_mask:0xf bank_mask:0xf// 000000017DA8: 0B2D2CFA FF00AAF9
	v_mul_f32_dpp v151, v249, v151 quad_perm:[3,3,3,3] row_mask:0xf bank_mask:0xf// 000000017DB0: 0B2F2EFA FF00FFF9
	v_mul_f32_dpp v152, v250, v152 quad_perm:[0,0,0,0] row_mask:0xf bank_mask:0xf// 000000017DB8: 0B3130FA FF0000FA
	v_mul_f32_dpp v153, v250, v153 quad_perm:[1,1,1,1] row_mask:0xf bank_mask:0xf// 000000017DC0: 0B3332FA FF0055FA
	v_mul_f32_dpp v154, v250, v154 quad_perm:[2,2,2,2] row_mask:0xf bank_mask:0xf// 000000017DC8: 0B3534FA FF00AAFA
	v_mul_f32_dpp v155, v250, v155 quad_perm:[3,3,3,3] row_mask:0xf bank_mask:0xf// 000000017DD0: 0B3736FA FF00FFFA
	v_mul_f32_dpp v156, v251, v156 quad_perm:[0,0,0,0] row_mask:0xf bank_mask:0xf// 000000017DD8: 0B3938FA FF0000FB
	v_mul_f32_dpp v157, v251, v157 quad_perm:[1,1,1,1] row_mask:0xf bank_mask:0xf// 000000017DE0: 0B3B3AFA FF0055FB
	v_mul_f32_dpp v158, v251, v158 quad_perm:[2,2,2,2] row_mask:0xf bank_mask:0xf// 000000017DE8: 0B3D3CFA FF00AAFB
	v_mul_f32_dpp v159, v251, v159 quad_perm:[3,3,3,3] row_mask:0xf bank_mask:0xf// 000000017DF0: 0B3F3EFA FF00FFFB
	s_and_b32 s60, s72, 0xff                                   // 000000017DF8: 863CFF48 000000FF
	v_mov_b32_e32 v65, s60                                     // 000000017E00: 7E82023C
	v_lshrrev_b32_e32 v240, 4, v0                              // 000000017E04: 21E00084
	v_mul_i32_i24_e32 v240, 4, v240                            // 000000017E08: 0DE1E084
	s_mul_i32 s60, s7, 16                                      // 000000017E0C: 923C9007
	v_add_u32_e32 v240, s60, v240                              // 000000017E10: 69E1E03C
	v_add_u32_e32 v241, 1, v240                                // 000000017E14: 69E3E081
	v_add_u32_e32 v242, 2, v240                                // 000000017E18: 69E5E082
	v_add_u32_e32 v243, 3, v240                                // 000000017E1C: 69E7E083
	v_mov_b32_e32 v64, 0xff800000                              // 000000017E20: 7E8002FF FF800000
	v_cmp_lt_u32_e64 s[40:41], v240, v65                       // 000000017E28: D0C90028 000283F0
	v_add_u32_e32 v240, 64, v240                               // 000000017E30: 69E1E0C0
	s_nop 0                                                    // 000000017E34: BF800000
	v_cndmask_b32_e64 v144, v64, v144, s[40:41]                // 000000017E38: D1000090 00A32140
	v_cmp_lt_u32_e64 s[40:41], v241, v65                       // 000000017E40: D0C90028 000283F1
	v_add_u32_e32 v241, 64, v241                               // 000000017E48: 69E3E2C0
	s_nop 0                                                    // 000000017E4C: BF800000
	v_cndmask_b32_e64 v145, v64, v145, s[40:41]                // 000000017E50: D1000091 00A32340
	v_cmp_lt_u32_e64 s[40:41], v242, v65                       // 000000017E58: D0C90028 000283F2
	v_add_u32_e32 v242, 64, v242                               // 000000017E60: 69E5E4C0
	s_nop 0                                                    // 000000017E64: BF800000
	v_cndmask_b32_e64 v146, v64, v146, s[40:41]                // 000000017E68: D1000092 00A32540
	v_cmp_lt_u32_e64 s[40:41], v243, v65                       // 000000017E70: D0C90028 000283F3
	v_add_u32_e32 v243, 64, v243                               // 000000017E78: 69E7E6C0
	s_nop 0                                                    // 000000017E7C: BF800000
	v_cndmask_b32_e64 v147, v64, v147, s[40:41]                // 000000017E80: D1000093 00A32740
	v_cmp_lt_u32_e64 s[40:41], v240, v65                       // 000000017E88: D0C90028 000283F0
	v_add_u32_e32 v240, 64, v240                               // 000000017E90: 69E1E0C0
	s_nop 0                                                    // 000000017E94: BF800000
	v_cndmask_b32_e64 v148, v64, v148, s[40:41]                // 000000017E98: D1000094 00A32940
	v_cmp_lt_u32_e64 s[40:41], v241, v65                       // 000000017EA0: D0C90028 000283F1
	v_add_u32_e32 v241, 64, v241                               // 000000017EA8: 69E3E2C0
	s_nop 0                                                    // 000000017EAC: BF800000
	v_cndmask_b32_e64 v149, v64, v149, s[40:41]                // 000000017EB0: D1000095 00A32B40
	v_cmp_lt_u32_e64 s[40:41], v242, v65                       // 000000017EB8: D0C90028 000283F2
	v_add_u32_e32 v242, 64, v242                               // 000000017EC0: 69E5E4C0
	s_nop 0                                                    // 000000017EC4: BF800000
	v_cndmask_b32_e64 v150, v64, v150, s[40:41]                // 000000017EC8: D1000096 00A32D40
	v_cmp_lt_u32_e64 s[40:41], v243, v65                       // 000000017ED0: D0C90028 000283F3
	v_add_u32_e32 v243, 64, v243                               // 000000017ED8: 69E7E6C0
	s_nop 0                                                    // 000000017EDC: BF800000
	v_cndmask_b32_e64 v151, v64, v151, s[40:41]                // 000000017EE0: D1000097 00A32F40
	v_cmp_lt_u32_e64 s[40:41], v240, v65                       // 000000017EE8: D0C90028 000283F0
	v_add_u32_e32 v240, 64, v240                               // 000000017EF0: 69E1E0C0
	s_nop 0                                                    // 000000017EF4: BF800000
	v_cndmask_b32_e64 v152, v64, v152, s[40:41]                // 000000017EF8: D1000098 00A33140
	v_cmp_lt_u32_e64 s[40:41], v241, v65                       // 000000017F00: D0C90028 000283F1
	v_add_u32_e32 v241, 64, v241                               // 000000017F08: 69E3E2C0
	s_nop 0                                                    // 000000017F0C: BF800000
	v_cndmask_b32_e64 v153, v64, v153, s[40:41]                // 000000017F10: D1000099 00A33340
	v_cmp_lt_u32_e64 s[40:41], v242, v65                       // 000000017F18: D0C90028 000283F2
	v_add_u32_e32 v242, 64, v242                               // 000000017F20: 69E5E4C0
	s_nop 0                                                    // 000000017F24: BF800000
	v_cndmask_b32_e64 v154, v64, v154, s[40:41]                // 000000017F28: D100009A 00A33540
	v_cmp_lt_u32_e64 s[40:41], v243, v65                       // 000000017F30: D0C90028 000283F3
	v_add_u32_e32 v243, 64, v243                               // 000000017F38: 69E7E6C0
	s_nop 0                                                    // 000000017F3C: BF800000
	v_cndmask_b32_e64 v155, v64, v155, s[40:41]                // 000000017F40: D100009B 00A33740
	v_cmp_lt_u32_e64 s[40:41], v240, v65                       // 000000017F48: D0C90028 000283F0
	v_add_u32_e32 v240, 64, v240                               // 000000017F50: 69E1E0C0
	s_nop 0                                                    // 000000017F54: BF800000
	v_cndmask_b32_e64 v156, v64, v156, s[40:41]                // 000000017F58: D100009C 00A33940
	v_cmp_lt_u32_e64 s[40:41], v241, v65                       // 000000017F60: D0C90028 000283F1
	v_add_u32_e32 v241, 64, v241                               // 000000017F68: 69E3E2C0
	s_nop 0                                                    // 000000017F6C: BF800000
	v_cndmask_b32_e64 v157, v64, v157, s[40:41]                // 000000017F70: D100009D 00A33B40
	v_cmp_lt_u32_e64 s[40:41], v242, v65                       // 000000017F78: D0C90028 000283F2
	v_add_u32_e32 v242, 64, v242                               // 000000017F80: 69E5E4C0
	s_nop 0                                                    // 000000017F84: BF800000
	v_cndmask_b32_e64 v158, v64, v158, s[40:41]                // 000000017F88: D100009E 00A33D40
	v_cmp_lt_u32_e64 s[40:41], v243, v65                       // 000000017F90: D0C90028 000283F3
	v_add_u32_e32 v243, 64, v243                               // 000000017F98: 69E7E6C0
	s_nop 0                                                    // 000000017F9C: BF800000
	v_cndmask_b32_e64 v159, v64, v159, s[40:41]                // 000000017FA0: D100009F 00A33F40
	v_mov_b32_e32 v48, v144                                    // 000000017FA8: 7E600390
	v_max3_f32 v48, v144, v145, v48                            // 000000017FAC: D1D30030 04C32390
	v_max3_f32 v48, v146, v147, v48                            // 000000017FB4: D1D30030 04C32792
	v_max3_f32 v48, v148, v149, v48                            // 000000017FBC: D1D30030 04C32B94
	v_max3_f32 v48, v150, v151, v48                            // 000000017FC4: D1D30030 04C32F96
	v_max3_f32 v48, v152, v153, v48                            // 000000017FCC: D1D30030 04C33398
	v_max3_f32 v48, v154, v155, v48                            // 000000017FD4: D1D30030 04C3379A
	v_max3_f32 v48, v156, v157, v48                            // 000000017FDC: D1D30030 04C33B9C
	v_max3_f32 v48, v158, v159, v48                            // 000000017FE4: D1D30030 04C33F9E
	ds_write_b32 v8, v48 offset:16896                          // 000000017FEC: D81A4200 00003008
	v_mul_f32_e32 v224, v51, v224                              // 000000017FF4: 0BC1C133
	v_mul_f32_e32 v225, v51, v225                              // 000000017FF8: 0BC3C333
	v_mul_f32_e32 v226, v51, v226                              // 000000017FFC: 0BC5C533
	v_mul_f32_e32 v227, v51, v227                              // 000000018000: 0BC7C733
	v_mul_f32_e32 v228, v51, v228                              // 000000018004: 0BC9C933
	v_mul_f32_e32 v229, v51, v229                              // 000000018008: 0BCBCB33
	v_mul_f32_e32 v230, v51, v230                              // 00000001800C: 0BCDCD33
	v_mul_f32_e32 v231, v51, v231                              // 000000018010: 0BCFCF33
	s_waitcnt lgkmcnt(0)                                       // 000000018014: BF8CC07F
	s_barrier                                                  // 000000018018: BF8A0000
	ds_read_b32 v64, v7 offset:16896                           // 00000001801C: D86C4200 40000007
	ds_read_b32 v65, v7 offset:16960                           // 000000018024: D86C4240 41000007
	ds_read_b32 v66, v7 offset:17024                           // 00000001802C: D86C4280 42000007
	ds_read_b32 v67, v7 offset:17088                           // 000000018034: D86C42C0 43000007
	ds_read_b32 v68, v7 offset:17152                           // 00000001803C: D86C4300 44000007
	ds_read_b32 v69, v7 offset:17216                           // 000000018044: D86C4340 45000007
	ds_read_b32 v70, v7 offset:17280                           // 00000001804C: D86C4380 46000007
	ds_read_b32 v71, v7 offset:17344                           // 000000018054: D86C43C0 47000007
	ds_read_b32 v72, v7 offset:17408                           // 00000001805C: D86C4400 48000007
	ds_read_b32 v73, v7 offset:17472                           // 000000018064: D86C4440 49000007
	ds_read_b32 v74, v7 offset:17536                           // 00000001806C: D86C4480 4A000007
	ds_read_b32 v75, v7 offset:17600                           // 000000018074: D86C44C0 4B000007
	ds_read_b32 v76, v7 offset:17664                           // 00000001807C: D86C4500 4C000007
	ds_read_b32 v77, v7 offset:17728                           // 000000018084: D86C4540 4D000007
	ds_read_b32 v78, v7 offset:17792                           // 00000001808C: D86C4580 4E000007
	ds_read_b32 v79, v7 offset:17856                           // 000000018094: D86C45C0 4F000007
	v_mul_f32_e32 v192, v46, v192                              // 00000001809C: 0B81812E
	v_mul_f32_e32 v193, v46, v193                              // 0000000180A0: 0B83832E
	v_mul_f32_e32 v194, v46, v194                              // 0000000180A4: 0B85852E
	v_mul_f32_e32 v195, v46, v195                              // 0000000180A8: 0B87872E
	v_mul_f32_e32 v196, v46, v196                              // 0000000180AC: 0B89892E
	v_mul_f32_e32 v197, v46, v197                              // 0000000180B0: 0B8B8B2E
	v_mul_f32_e32 v198, v46, v198                              // 0000000180B4: 0B8D8D2E
	v_mul_f32_e32 v199, v46, v199                              // 0000000180B8: 0B8F8F2E
	s_waitcnt lgkmcnt(0)                                       // 0000000180BC: BF8CC07F
	v_max3_f32 v48, v64, v65, v48                              // 0000000180C0: D1D30030 04C28340
	v_max3_f32 v48, v66, v67, v48                              // 0000000180C8: D1D30030 04C28742
	v_max3_f32 v48, v68, v69, v48                              // 0000000180D0: D1D30030 04C28B44
	v_max3_f32 v48, v70, v71, v48                              // 0000000180D8: D1D30030 04C28F46
	v_max3_f32 v48, v72, v73, v48                              // 0000000180E0: D1D30030 04C29348
	v_max3_f32 v48, v74, v75, v48                              // 0000000180E8: D1D30030 04C2974A
	v_max3_f32 v48, v76, v77, v48                              // 0000000180F0: D1D30030 04C29B4C
	v_max3_f32 v48, v78, v79, v48                              // 0000000180F8: D1D30030 04C29F4E
	v_mov_b32_e32 v64, 0xff800000                              // 000000018100: 7E8002FF FF800000
	v_cmp_eq_u32_e64 s[40:41], v64, v13                        // 000000018108: D0CA0028 00021B40
	s_nop 1                                                    // 000000018110: BF800001
	v_max_f32_e32 v15, v48, v13                                // 000000018114: 161E1B30
	v_mul_f32_e32 v53, s64, v15                                // 000000018118: 0A6A1E40
	v_fma_f32 v144, v144, s64, -v53                            // 00000001811C: D1CB0090 84D48190
	v_fma_f32 v145, v145, s64, -v53                            // 000000018124: D1CB0091 84D48191
	v_fma_f32 v146, v146, s64, -v53                            // 00000001812C: D1CB0092 84D48192
	v_fma_f32 v147, v147, s64, -v53                            // 000000018134: D1CB0093 84D48193
	v_fma_f32 v148, v148, s64, -v53                            // 00000001813C: D1CB0094 84D48194
	v_fma_f32 v149, v149, s64, -v53                            // 000000018144: D1CB0095 84D48195
	v_fma_f32 v150, v150, s64, -v53                            // 00000001814C: D1CB0096 84D48196
	v_fma_f32 v151, v151, s64, -v53                            // 000000018154: D1CB0097 84D48197
	v_fma_f32 v152, v152, s64, -v53                            // 00000001815C: D1CB0098 84D48198
	v_fma_f32 v153, v153, s64, -v53                            // 000000018164: D1CB0099 84D48199
	v_fma_f32 v154, v154, s64, -v53                            // 00000001816C: D1CB009A 84D4819A
	v_fma_f32 v155, v155, s64, -v53                            // 000000018174: D1CB009B 84D4819B
	v_fma_f32 v156, v156, s64, -v53                            // 00000001817C: D1CB009C 84D4819C
	v_fma_f32 v157, v157, s64, -v53                            // 000000018184: D1CB009D 84D4819D
	v_fma_f32 v158, v158, s64, -v53                            // 00000001818C: D1CB009E 84D4819E
	v_fma_f32 v159, v159, s64, -v53                            // 000000018194: D1CB009F 84D4819F
	v_exp_f32_e32 v144, v144                                   // 00000001819C: 7F204190
	v_exp_f32_e32 v145, v145                                   // 0000000181A0: 7F224191
	v_exp_f32_e32 v146, v146                                   // 0000000181A4: 7F244192
	v_exp_f32_e32 v147, v147                                   // 0000000181A8: 7F264193
	v_exp_f32_e32 v148, v148                                   // 0000000181AC: 7F284194
	v_exp_f32_e32 v149, v149                                   // 0000000181B0: 7F2A4195
	v_exp_f32_e32 v150, v150                                   // 0000000181B4: 7F2C4196
	v_exp_f32_e32 v151, v151                                   // 0000000181B8: 7F2E4197
	v_exp_f32_e32 v152, v152                                   // 0000000181BC: 7F304198
	v_exp_f32_e32 v153, v153                                   // 0000000181C0: 7F324199
	v_exp_f32_e32 v154, v154                                   // 0000000181C4: 7F34419A
	v_exp_f32_e32 v155, v155                                   // 0000000181C8: 7F36419B
	v_exp_f32_e32 v156, v156                                   // 0000000181CC: 7F38419C
	v_exp_f32_e32 v157, v157                                   // 0000000181D0: 7F3A419D
	v_exp_f32_e32 v158, v158                                   // 0000000181D4: 7F3C419E
	v_exp_f32_e32 v159, v159                                   // 0000000181D8: 7F3E419F
	v_mul_f32_dpp v240, v252, v144 quad_perm:[0,0,0,0] row_mask:0xf bank_mask:0xf// 0000000181DC: 0BE120FA FF0000FC
	v_mul_f32_dpp v241, v252, v145 quad_perm:[1,1,1,1] row_mask:0xf bank_mask:0xf// 0000000181E4: 0BE322FA FF0055FC
	v_mul_f32_dpp v242, v252, v146 quad_perm:[2,2,2,2] row_mask:0xf bank_mask:0xf// 0000000181EC: 0BE524FA FF00AAFC
	v_mul_f32_dpp v243, v252, v147 quad_perm:[3,3,3,3] row_mask:0xf bank_mask:0xf// 0000000181F4: 0BE726FA FF00FFFC
	v_mul_f32_dpp v244, v253, v148 quad_perm:[0,0,0,0] row_mask:0xf bank_mask:0xf// 0000000181FC: 0BE928FA FF0000FD
	v_mul_f32_dpp v245, v253, v149 quad_perm:[1,1,1,1] row_mask:0xf bank_mask:0xf// 000000018204: 0BEB2AFA FF0055FD
	v_mul_f32_dpp v246, v253, v150 quad_perm:[2,2,2,2] row_mask:0xf bank_mask:0xf// 00000001820C: 0BED2CFA FF00AAFD
	v_mul_f32_dpp v247, v253, v151 quad_perm:[3,3,3,3] row_mask:0xf bank_mask:0xf// 000000018214: 0BEF2EFA FF00FFFD
	v_mul_f32_dpp v248, v254, v152 quad_perm:[0,0,0,0] row_mask:0xf bank_mask:0xf// 00000001821C: 0BF130FA FF0000FE
	v_mul_f32_dpp v249, v254, v153 quad_perm:[1,1,1,1] row_mask:0xf bank_mask:0xf// 000000018224: 0BF332FA FF0055FE
	v_mul_f32_dpp v250, v254, v154 quad_perm:[2,2,2,2] row_mask:0xf bank_mask:0xf// 00000001822C: 0BF534FA FF00AAFE
	v_mul_f32_dpp v251, v254, v155 quad_perm:[3,3,3,3] row_mask:0xf bank_mask:0xf// 000000018234: 0BF736FA FF00FFFE
	v_mul_f32_dpp v252, v255, v156 quad_perm:[0,0,0,0] row_mask:0xf bank_mask:0xf// 00000001823C: 0BF938FA FF0000FF
	v_mul_f32_dpp v253, v255, v157 quad_perm:[1,1,1,1] row_mask:0xf bank_mask:0xf// 000000018244: 0BFB3AFA FF0055FF
	v_mul_f32_dpp v254, v255, v158 quad_perm:[2,2,2,2] row_mask:0xf bank_mask:0xf// 00000001824C: 0BFD3CFA FF00AAFF
	v_mul_f32_dpp v255, v255, v159 quad_perm:[3,3,3,3] row_mask:0xf bank_mask:0xf// 000000018254: 0BFF3EFA FF00FFFF
	v_mov_b32_e32 v48, 0x358637bd                              // 00000001825C: 7E6002FF 358637BD
	v_max3_f32 v48, |v240|, |v241|, v48                        // 000000018264: D1D30330 04C3E3F0
	v_max3_f32 v48, |v242|, |v243|, v48                        // 00000001826C: D1D30330 04C3E7F2
	v_max3_f32 v48, |v244|, |v245|, v48                        // 000000018274: D1D30330 04C3EBF4
	v_max3_f32 v48, |v246|, |v247|, v48                        // 00000001827C: D1D30330 04C3EFF6
	v_max3_f32 v48, |v248|, |v249|, v48                        // 000000018284: D1D30330 04C3F3F8
	v_max3_f32 v48, |v250|, |v251|, v48                        // 00000001828C: D1D30330 04C3F7FA
	v_max3_f32 v48, |v252|, |v253|, v48                        // 000000018294: D1D30330 04C3FBFC
	v_max3_f32 v48, |v254|, |v255|, v48                        // 00000001829C: D1D30330 04C3FFFE
	ds_write_b32 v8, v48 offset:20992                          // 0000000182A4: D81A5200 00003008
	v_sub_f32_e32 v51, v13, v15                                // 0000000182AC: 04661F0D
	v_cndmask_b32_e64 v51, v51, 0, s[40:41]                    // 0000000182B0: D1000033 00A10133
	v_mov_b32_e32 v13, v15                                     // 0000000182B8: 7E1A030F
	v_mul_f32_e32 v51, s64, v51                                // 0000000182BC: 0A666640
	v_exp_f32_e32 v51, v51                                     // 0000000182C0: 7E664133
	s_waitcnt lgkmcnt(0)                                       // 0000000182C4: BF8CC07F
	s_barrier                                                  // 0000000182C8: BF8A0000
	ds_read_b32 v64, v7 offset:20992                           // 0000000182CC: D86C5200 40000007
	ds_read_b32 v65, v7 offset:21056                           // 0000000182D4: D86C5240 41000007
	ds_read_b32 v66, v7 offset:21120                           // 0000000182DC: D86C5280 42000007
	ds_read_b32 v67, v7 offset:21184                           // 0000000182E4: D86C52C0 43000007
	ds_read_b32 v68, v7 offset:21248                           // 0000000182EC: D86C5300 44000007
	ds_read_b32 v69, v7 offset:21312                           // 0000000182F4: D86C5340 45000007
	ds_read_b32 v70, v7 offset:21376                           // 0000000182FC: D86C5380 46000007
	ds_read_b32 v71, v7 offset:21440                           // 000000018304: D86C53C0 47000007
	ds_read_b32 v72, v7 offset:21504                           // 00000001830C: D86C5400 48000007
	ds_read_b32 v73, v7 offset:21568                           // 000000018314: D86C5440 49000007
	ds_read_b32 v74, v7 offset:21632                           // 00000001831C: D86C5480 4A000007
	ds_read_b32 v75, v7 offset:21696                           // 000000018324: D86C54C0 4B000007
	ds_read_b32 v76, v7 offset:21760                           // 00000001832C: D86C5500 4C000007
	ds_read_b32 v77, v7 offset:21824                           // 000000018334: D86C5540 4D000007
	ds_read_b32 v78, v7 offset:21888                           // 00000001833C: D86C5580 4E000007
	ds_read_b32 v79, v7 offset:21952                           // 000000018344: D86C55C0 4F000007
	v_mul_f32_e32 v40, v51, v40                                // 00000001834C: 0A505133
	v_mov_b32_e32 v15, v144                                    // 000000018350: 7E1E0390
	v_add_f32_e32 v15, v145, v15                               // 000000018354: 021E1F91
	v_add_f32_e32 v15, v146, v15                               // 000000018358: 021E1F92
	v_add_f32_e32 v15, v147, v15                               // 00000001835C: 021E1F93
	v_add_f32_e32 v15, v148, v15                               // 000000018360: 021E1F94
	v_add_f32_e32 v15, v149, v15                               // 000000018364: 021E1F95
	v_add_f32_e32 v15, v150, v15                               // 000000018368: 021E1F96
	v_add_f32_e32 v15, v151, v15                               // 00000001836C: 021E1F97
	v_add_f32_e32 v15, v152, v15                               // 000000018370: 021E1F98
	v_add_f32_e32 v15, v153, v15                               // 000000018374: 021E1F99
	v_add_f32_e32 v15, v154, v15                               // 000000018378: 021E1F9A
	v_add_f32_e32 v15, v155, v15                               // 00000001837C: 021E1F9B
	v_add_f32_e32 v15, v156, v15                               // 000000018380: 021E1F9C
	v_add_f32_e32 v15, v157, v15                               // 000000018384: 021E1F9D
	v_add_f32_e32 v15, v158, v15                               // 000000018388: 021E1F9E
	v_add_f32_e32 v15, v159, v15                               // 00000001838C: 021E1F9F
	v_add_f32_e32 v40, v15, v40                                // 000000018390: 0250510F
	s_waitcnt lgkmcnt(0)                                       // 000000018394: BF8CC07F
	v_max3_f32 v48, |v64|, |v65|, v48                          // 000000018398: D1D30330 04C28340
	v_max3_f32 v48, |v66|, |v67|, v48                          // 0000000183A0: D1D30330 04C28742
	v_max3_f32 v48, |v68|, |v69|, v48                          // 0000000183A8: D1D30330 04C28B44
	v_max3_f32 v48, |v70|, |v71|, v48                          // 0000000183B0: D1D30330 04C28F46
	v_max3_f32 v48, |v72|, |v73|, v48                          // 0000000183B8: D1D30330 04C29348
	v_max3_f32 v48, |v74|, |v75|, v48                          // 0000000183C0: D1D30330 04C2974A
	v_max3_f32 v48, |v76|, |v77|, v48                          // 0000000183C8: D1D30330 04C29B4C
	v_max3_f32 v48, |v78|, |v79|, v48                          // 0000000183D0: D1D30330 04C29F4E
	s_nop 2                                                    // 0000000183D8: BF800002
	v_rcp_f32_e32 v48, v48                                     // 0000000183DC: 7E604530
	s_nop 1                                                    // 0000000183E0: BF800001
	v_mul_f32_e32 v48, 0x43e00000, v48                         // 0000000183E4: 0A6060FF 43E00000
	v_mul_f32_e32 v144, v48, v240                              // 0000000183EC: 0B21E130
	v_mul_f32_e32 v145, v48, v241                              // 0000000183F0: 0B23E330
	v_mul_f32_e32 v146, v48, v242                              // 0000000183F4: 0B25E530
	v_mul_f32_e32 v147, v48, v243                              // 0000000183F8: 0B27E730
	v_mul_f32_e32 v148, v48, v244                              // 0000000183FC: 0B29E930
	v_mul_f32_e32 v149, v48, v245                              // 000000018400: 0B2BEB30
	v_mul_f32_e32 v150, v48, v246                              // 000000018404: 0B2DED30
	v_mul_f32_e32 v151, v48, v247                              // 000000018408: 0B2FEF30
	v_mul_f32_e32 v152, v48, v248                              // 00000001840C: 0B31F130
	v_mul_f32_e32 v153, v48, v249                              // 000000018410: 0B33F330
	v_mul_f32_e32 v154, v48, v250                              // 000000018414: 0B35F530
	v_mul_f32_e32 v155, v48, v251                              // 000000018418: 0B37F730
	v_mul_f32_e32 v156, v48, v252                              // 00000001841C: 0B39F930
	v_mul_f32_e32 v157, v48, v253                              // 000000018420: 0B3BFB30
	v_mul_f32_e32 v158, v48, v254                              // 000000018424: 0B3DFD30
	v_mul_f32_e32 v159, v48, v255                              // 000000018428: 0B3FFF30
	v_cvt_pk_fp8_f32 v144, v144, v145                          // 00000001842C: D2A20090 00032390
	v_cvt_pk_fp8_f32 v144, v146, v147 op_sel:[0,0,1]           // 000000018434: D2A24090 00032792
	v_cvt_pk_fp8_f32 v145, v148, v149                          // 00000001843C: D2A20091 00032B94
	v_cvt_pk_fp8_f32 v145, v150, v151 op_sel:[0,0,1]           // 000000018444: D2A24091 00032F96
	v_cvt_pk_fp8_f32 v146, v152, v153                          // 00000001844C: D2A20092 00033398
	v_cvt_pk_fp8_f32 v146, v154, v155 op_sel:[0,0,1]           // 000000018454: D2A24092 0003379A
	v_cvt_pk_fp8_f32 v147, v156, v157                          // 00000001845C: D2A20093 00033B9C
	v_cvt_pk_fp8_f32 v147, v158, v159 op_sel:[0,0,1]           // 000000018464: D2A24093 00033F9E
	ds_write_b32 v10, v144 offset:33280                        // 00000001846C: D81A8200 0000900A
	ds_write_b32 v10, v145 offset:34304                        // 000000018474: D81A8600 0000910A
	ds_write_b32 v10, v146 offset:35328                        // 00000001847C: D81A8A00 0000920A
	ds_write_b32 v10, v147 offset:36352                        // 000000018484: D81A8E00 0000930A
	v_add_f32_e32 v224, v224, v192                             // 00000001848C: 03C181E0
	v_add_f32_e32 v225, v225, v193                             // 000000018490: 03C383E1
	v_add_f32_e32 v226, v226, v194                             // 000000018494: 03C585E2
	v_add_f32_e32 v227, v227, v195                             // 000000018498: 03C787E3
	v_add_f32_e32 v228, v228, v196                             // 00000001849C: 03C989E4
	v_add_f32_e32 v229, v229, v197                             // 0000000184A0: 03CB8BE5
	v_add_f32_e32 v230, v230, v198                             // 0000000184A4: 03CD8DE6
	v_add_f32_e32 v231, v231, v199                             // 0000000184A8: 03CF8FE7
	v_rcp_f32_e32 v46, v48                                     // 0000000184AC: 7E5C4530
	s_waitcnt lgkmcnt(0)                                       // 0000000184B0: BF8CC07F
	s_barrier                                                  // 0000000184B4: BF8A0000
	ds_read_b64 v[144:145], v9 offset:33280                    // 0000000184B8: D8EC8200 90000009
	ds_read_b64 v[146:147], v9 offset:33408                    // 0000000184C0: D8EC8280 92000009
	ds_read_b64 v[148:149], v9 offset:34304                    // 0000000184C8: D8EC8600 94000009
	ds_read_b64 v[150:151], v9 offset:34432                    // 0000000184D0: D8EC8680 96000009
	ds_read_b64 v[152:153], v9 offset:35328                    // 0000000184D8: D8EC8A00 98000009
	ds_read_b64 v[154:155], v9 offset:35456                    // 0000000184E0: D8EC8A80 9A000009
	ds_read_b64 v[156:157], v9 offset:36352                    // 0000000184E8: D8EC8E00 9C000009
	ds_read_b64 v[158:159], v9 offset:36480                    // 0000000184F0: D8EC8E80 9E000009
	s_waitcnt vmcnt(0)                                         // 0000000184F8: BF8C0F70
	s_barrier                                                  // 0000000184FC: BF8A0000
	v_mfma_f32_16x16x32_fp8_fp8 v[176:179], a[96:97], v[112:113], 0// 000000018500: D3F300B0 0A02E160
	v_mfma_f32_16x16x32_fp8_fp8 v[176:179], a[98:99], v[114:115], v[176:179]// 000000018508: D3F300B0 0EC2E562
	v_mfma_f32_16x16x32_fp8_fp8 v[176:179], a[100:101], v[116:117], v[176:179]// 000000018510: D3F300B0 0EC2E964
	v_mfma_f32_16x16x32_fp8_fp8 v[176:179], a[102:103], v[118:119], v[176:179]// 000000018518: D3F300B0 0EC2ED66
	v_mfma_f32_16x16x32_fp8_fp8 v[176:179], a[104:105], v[120:121], v[176:179]// 000000018520: D3F300B0 0EC2F168
	v_mfma_f32_16x16x32_fp8_fp8 v[176:179], a[106:107], v[122:123], v[176:179]// 000000018528: D3F300B0 0EC2F56A
	v_mfma_f32_16x16x32_fp8_fp8 v[176:179], a[108:109], v[124:125], v[176:179]// 000000018530: D3F300B0 0EC2F96C
	v_mfma_f32_16x16x32_fp8_fp8 v[176:179], a[110:111], v[126:127], v[176:179]// 000000018538: D3F300B0 0EC2FD6E
	v_mfma_f32_16x16x32_fp8_fp8 v[180:183], a[112:113], v[112:113], 0// 000000018540: D3F300B4 0A02E170
	v_mfma_f32_16x16x32_fp8_fp8 v[180:183], a[114:115], v[114:115], v[180:183]// 000000018548: D3F300B4 0ED2E572
	v_mfma_f32_16x16x32_fp8_fp8 v[180:183], a[116:117], v[116:117], v[180:183]// 000000018550: D3F300B4 0ED2E974
	v_mfma_f32_16x16x32_fp8_fp8 v[180:183], a[118:119], v[118:119], v[180:183]// 000000018558: D3F300B4 0ED2ED76
	v_mfma_f32_16x16x32_fp8_fp8 v[180:183], a[120:121], v[120:121], v[180:183]// 000000018560: D3F300B4 0ED2F178
	v_mfma_f32_16x16x32_fp8_fp8 v[180:183], a[122:123], v[122:123], v[180:183]// 000000018568: D3F300B4 0ED2F57A
	v_mfma_f32_16x16x32_fp8_fp8 v[180:183], a[124:125], v[124:125], v[180:183]// 000000018570: D3F300B4 0ED2F97C
	v_mfma_f32_16x16x32_fp8_fp8 v[180:183], a[126:127], v[126:127], v[180:183]// 000000018578: D3F300B4 0ED2FD7E
	v_mfma_f32_16x16x32_fp8_fp8 v[184:187], a[96:97], v[128:129], 0// 000000018580: D3F300B8 0A030160
	v_mfma_f32_16x16x32_fp8_fp8 v[184:187], a[98:99], v[130:131], v[184:187]// 000000018588: D3F300B8 0EE30562
	v_mfma_f32_16x16x32_fp8_fp8 v[184:187], a[100:101], v[132:133], v[184:187]// 000000018590: D3F300B8 0EE30964
	v_mfma_f32_16x16x32_fp8_fp8 v[184:187], a[102:103], v[134:135], v[184:187]// 000000018598: D3F300B8 0EE30D66
	v_mfma_f32_16x16x32_fp8_fp8 v[184:187], a[104:105], v[136:137], v[184:187]// 0000000185A0: D3F300B8 0EE31168
	v_mfma_f32_16x16x32_fp8_fp8 v[184:187], a[106:107], v[138:139], v[184:187]// 0000000185A8: D3F300B8 0EE3156A
	v_mfma_f32_16x16x32_fp8_fp8 v[184:187], a[108:109], v[140:141], v[184:187]// 0000000185B0: D3F300B8 0EE3196C
	v_mfma_f32_16x16x32_fp8_fp8 v[184:187], a[110:111], v[142:143], v[184:187]// 0000000185B8: D3F300B8 0EE31D6E
	v_mfma_f32_16x16x32_fp8_fp8 v[188:191], a[112:113], v[128:129], 0// 0000000185C0: D3F300BC 0A030170
	v_mfma_f32_16x16x32_fp8_fp8 v[188:191], a[114:115], v[130:131], v[188:191]// 0000000185C8: D3F300BC 0EF30572
	v_mfma_f32_16x16x32_fp8_fp8 v[188:191], a[116:117], v[132:133], v[188:191]// 0000000185D0: D3F300BC 0EF30974
	v_mfma_f32_16x16x32_fp8_fp8 v[188:191], a[118:119], v[134:135], v[188:191]// 0000000185D8: D3F300BC 0EF30D76
	v_mfma_f32_16x16x32_fp8_fp8 v[188:191], a[120:121], v[136:137], v[188:191]// 0000000185E0: D3F300BC 0EF31178
	v_mfma_f32_16x16x32_fp8_fp8 v[188:191], a[122:123], v[138:139], v[188:191]// 0000000185E8: D3F300BC 0EF3157A
	v_mfma_f32_16x16x32_fp8_fp8 v[188:191], a[124:125], v[140:141], v[188:191]// 0000000185F0: D3F300BC 0EF3197C
	v_mfma_f32_16x16x32_fp8_fp8 v[188:191], a[126:127], v[142:143], v[188:191]// 0000000185F8: D3F300BC 0EF31D7E
	v_mfma_f32_16x16x32_fp8_fp8 v[192:195], a[96:97], v[144:145], 0// 000000018600: D3F300C0 0A032160
	v_mfma_f32_16x16x32_fp8_fp8 v[192:195], a[98:99], v[146:147], v[192:195]// 000000018608: D3F300C0 0F032562
	v_mfma_f32_16x16x32_fp8_fp8 v[192:195], a[100:101], v[148:149], v[192:195]// 000000018610: D3F300C0 0F032964
	v_mfma_f32_16x16x32_fp8_fp8 v[192:195], a[102:103], v[150:151], v[192:195]// 000000018618: D3F300C0 0F032D66
	v_mfma_f32_16x16x32_fp8_fp8 v[192:195], a[104:105], v[152:153], v[192:195]// 000000018620: D3F300C0 0F033168
	v_mfma_f32_16x16x32_fp8_fp8 v[192:195], a[106:107], v[154:155], v[192:195]// 000000018628: D3F300C0 0F03356A
	v_mfma_f32_16x16x32_fp8_fp8 v[192:195], a[108:109], v[156:157], v[192:195]// 000000018630: D3F300C0 0F03396C
	v_mfma_f32_16x16x32_fp8_fp8 v[192:195], a[110:111], v[158:159], v[192:195]// 000000018638: D3F300C0 0F033D6E
	v_mfma_f32_16x16x32_fp8_fp8 v[196:199], a[112:113], v[144:145], 0// 000000018640: D3F300C4 0A032170
	v_mfma_f32_16x16x32_fp8_fp8 v[196:199], a[114:115], v[146:147], v[196:199]// 000000018648: D3F300C4 0F132572
	v_mfma_f32_16x16x32_fp8_fp8 v[196:199], a[116:117], v[148:149], v[196:199]// 000000018650: D3F300C4 0F132974
	v_mfma_f32_16x16x32_fp8_fp8 v[196:199], a[118:119], v[150:151], v[196:199]// 000000018658: D3F300C4 0F132D76
	v_mfma_f32_16x16x32_fp8_fp8 v[196:199], a[120:121], v[152:153], v[196:199]// 000000018660: D3F300C4 0F133178
	v_mfma_f32_16x16x32_fp8_fp8 v[196:199], a[122:123], v[154:155], v[196:199]// 000000018668: D3F300C4 0F13357A
	v_mfma_f32_16x16x32_fp8_fp8 v[196:199], a[124:125], v[156:157], v[196:199]// 000000018670: D3F300C4 0F13397C
	v_mfma_f32_16x16x32_fp8_fp8 v[196:199], a[126:127], v[158:159], v[196:199]// 000000018678: D3F300C4 0F133D7E
	s_nop 4                                                    // 000000018680: BF800004
	s_branch label_5922                                        // 000000018684: BF820000

0000000000018688 <label_5922>:
	v_mul_f32_e32 v208, v49, v208                              // 000000018688: 0BA1A131
	v_mul_f32_e32 v209, v49, v209                              // 00000001868C: 0BA3A331
	v_mul_f32_e32 v210, v49, v210                              // 000000018690: 0BA5A531
	v_mul_f32_e32 v211, v49, v211                              // 000000018694: 0BA7A731
	v_mul_f32_e32 v212, v49, v212                              // 000000018698: 0BA9A931
	v_mul_f32_e32 v213, v49, v213                              // 00000001869C: 0BABAB31
	v_mul_f32_e32 v214, v49, v214                              // 0000000186A0: 0BADAD31
	v_mul_f32_e32 v215, v49, v215                              // 0000000186A4: 0BAFAF31
	v_mul_f32_e32 v176, v44, v176                              // 0000000186A8: 0B61612C
	v_mul_f32_e32 v177, v44, v177                              // 0000000186AC: 0B63632C
	v_mul_f32_e32 v178, v44, v178                              // 0000000186B0: 0B65652C
	v_mul_f32_e32 v179, v44, v179                              // 0000000186B4: 0B67672C
	v_mul_f32_e32 v180, v44, v180                              // 0000000186B8: 0B69692C
	v_mul_f32_e32 v181, v44, v181                              // 0000000186BC: 0B6B6B2C
	v_mul_f32_e32 v182, v44, v182                              // 0000000186C0: 0B6D6D2C
	v_mul_f32_e32 v183, v44, v183                              // 0000000186C4: 0B6F6F2C
	v_add_f32_e32 v208, v208, v176                             // 0000000186C8: 03A161D0
	v_add_f32_e32 v209, v209, v177                             // 0000000186CC: 03A363D1
	v_add_f32_e32 v210, v210, v178                             // 0000000186D0: 03A565D2
	v_add_f32_e32 v211, v211, v179                             // 0000000186D4: 03A767D3
	v_add_f32_e32 v212, v212, v180                             // 0000000186D8: 03A969D4
	v_add_f32_e32 v213, v213, v181                             // 0000000186DC: 03AB6BD5
	v_add_f32_e32 v214, v214, v182                             // 0000000186E0: 03AD6DD6
	v_add_f32_e32 v215, v215, v183                             // 0000000186E4: 03AF6FD7
	ds_write_b32 v8, v38 offset:16896                          // 0000000186E8: D81A4200 00002608
	s_waitcnt lgkmcnt(0)                                       // 0000000186F0: BF8CC07F
	s_barrier                                                  // 0000000186F4: BF8A0000
	ds_read_b32 v64, v7 offset:16896                           // 0000000186F8: D86C4200 40000007
	ds_read_b32 v65, v7 offset:16960                           // 000000018700: D86C4240 41000007
	ds_read_b32 v66, v7 offset:17024                           // 000000018708: D86C4280 42000007
	ds_read_b32 v67, v7 offset:17088                           // 000000018710: D86C42C0 43000007
	ds_read_b32 v68, v7 offset:17152                           // 000000018718: D86C4300 44000007
	ds_read_b32 v69, v7 offset:17216                           // 000000018720: D86C4340 45000007
	ds_read_b32 v70, v7 offset:17280                           // 000000018728: D86C4380 46000007
	ds_read_b32 v71, v7 offset:17344                           // 000000018730: D86C43C0 47000007
	ds_read_b32 v72, v7 offset:17408                           // 000000018738: D86C4400 48000007
	ds_read_b32 v73, v7 offset:17472                           // 000000018740: D86C4440 49000007
	ds_read_b32 v74, v7 offset:17536                           // 000000018748: D86C4480 4A000007
	ds_read_b32 v75, v7 offset:17600                           // 000000018750: D86C44C0 4B000007
	ds_read_b32 v76, v7 offset:17664                           // 000000018758: D86C4500 4C000007
	ds_read_b32 v77, v7 offset:17728                           // 000000018760: D86C4540 4D000007
	ds_read_b32 v78, v7 offset:17792                           // 000000018768: D86C4580 4E000007
	ds_read_b32 v79, v7 offset:17856                           // 000000018770: D86C45C0 4F000007
	s_waitcnt lgkmcnt(0)                                       // 000000018778: BF8CC07F
	v_mov_b32_e32 v38, 0                                       // 00000001877C: 7E4C0280
	v_add_f32_e32 v38, v64, v38                                // 000000018780: 024C4D40
	v_add_f32_e32 v38, v65, v38                                // 000000018784: 024C4D41
	v_add_f32_e32 v38, v66, v38                                // 000000018788: 024C4D42
	v_add_f32_e32 v38, v67, v38                                // 00000001878C: 024C4D43
	v_add_f32_e32 v38, v68, v38                                // 000000018790: 024C4D44
	v_add_f32_e32 v38, v69, v38                                // 000000018794: 024C4D45
	v_add_f32_e32 v38, v70, v38                                // 000000018798: 024C4D46
	v_add_f32_e32 v38, v71, v38                                // 00000001879C: 024C4D47
	v_add_f32_e32 v38, v72, v38                                // 0000000187A0: 024C4D48
	v_add_f32_e32 v38, v73, v38                                // 0000000187A4: 024C4D49
	v_add_f32_e32 v38, v74, v38                                // 0000000187A8: 024C4D4A
	v_add_f32_e32 v38, v75, v38                                // 0000000187AC: 024C4D4B
	v_add_f32_e32 v38, v76, v38                                // 0000000187B0: 024C4D4C
	v_add_f32_e32 v38, v77, v38                                // 0000000187B4: 024C4D4D
	v_add_f32_e32 v38, v78, v38                                // 0000000187B8: 024C4D4E
	v_add_f32_e32 v38, v79, v38                                // 0000000187BC: 024C4D4F
	s_nop 1                                                    // 0000000187C0: BF800001
	v_rcp_f32_e32 v38, v38                                     // 0000000187C4: 7E4C4526
	s_nop 1                                                    // 0000000187C8: BF800001
	v_mul_f32_e32 v208, v38, v208                              // 0000000187CC: 0BA1A126
	v_mul_f32_e32 v209, v38, v209                              // 0000000187D0: 0BA3A326
	v_mul_f32_e32 v210, v38, v210                              // 0000000187D4: 0BA5A526
	v_mul_f32_e32 v211, v38, v211                              // 0000000187D8: 0BA7A726
	v_mul_f32_e32 v212, v38, v212                              // 0000000187DC: 0BA9A926
	v_mul_f32_e32 v213, v38, v213                              // 0000000187E0: 0BABAB26
	v_mul_f32_e32 v214, v38, v214                              // 0000000187E4: 0BADAD26
	v_mul_f32_e32 v215, v38, v215                              // 0000000187E8: 0BAFAF26
	v_mov_b32_e32 v19, 0xffff0000                              // 0000000187EC: 7E2602FF FFFF0000
	v_mov_b32_e32 v20, 0x7fff0000                              // 0000000187F4: 7E2802FF 7FFF0000
	v_mov_b32_e32 v21, 0x7fff                                  // 0000000187FC: 7E2A02FF 00007FFF
	v_cvt_pkrtz_f16_f32 v64, v208, v209                        // 000000018804: D2960040 0003A3D0
	v_mov_b32_e32 v208, v64                                    // 00000001880C: 7FA00340
	v_cvt_pkrtz_f16_f32 v64, v210, v211                        // 000000018810: D2960040 0003A7D2
	v_mov_b32_e32 v209, v64                                    // 000000018818: 7FA20340
	v_cvt_pkrtz_f16_f32 v64, v212, v213                        // 00000001881C: D2960040 0003ABD4
	v_mov_b32_e32 v210, v64                                    // 000000018824: 7FA40340
	v_cvt_pkrtz_f16_f32 v64, v214, v215                        // 000000018828: D2960040 0003AFD6
	v_mov_b32_e32 v211, v64                                    // 000000018830: 7FA60340
	s_nop 1                                                    // 000000018834: BF800001
	v_lshrrev_b32_e32 v64, 4, v0                               // 000000018838: 20800084
	v_mul_i32_i24_e32 v68, 34, v64                             // 00000001883C: 0C8880A2
	v_and_b32_e32 v64, 15, v0                                  // 000000018840: 2680008F
	v_mul_i32_i24_e32 v65, 2, v64                              // 000000018844: 0C828082
	v_add_u32_e32 v68, v65, v68                                // 000000018848: 68888941
	s_mul_i32 s60, s7, 0x88                                    // 00000001884C: 923CFF07 00000088
	v_add_u32_e32 v68, s60, v68                                // 000000018854: 6888883C
	v_lshlrev_b32_e32 v68, 2, v68                              // 000000018858: 24888882
	ds_write_b64 v68, v[208:209] offset:41472                  // 00000001885C: D89AA200 0000D044
	ds_write_b64 v68, v[210:211] offset:43648                  // 000000018864: D89AAA80 0000D244
	v_lshrrev_b32_e32 v64, 1, v0                               // 00000001886C: 20800081
	v_mul_i32_i24_e32 v68, 34, v64                             // 000000018870: 0C8880A2
	v_and_b32_e32 v65, 1, v0                                   // 000000018874: 26820081
	v_add_u32_e32 v68, v65, v68                                // 000000018878: 68888941
	s_mul_i32 s60, s7, 2                                       // 00000001887C: 923C8207
	v_add_u32_e32 v68, s60, v68                                // 000000018880: 6888883C
	v_lshlrev_b32_e32 v68, 2, v68                              // 000000018884: 24888882
	s_waitcnt lgkmcnt(0)                                       // 000000018888: BF8CC07F
	s_barrier                                                  // 00000001888C: BF8A0000
	ds_read_b32 v208, v68 offset:41472                         // 000000018890: D86CA200 D0000044
	ds_read_b32 v209, v68 offset:41504                         // 000000018898: D86CA220 D1000044
	ds_read_b32 v210, v68 offset:41536                         // 0000000188A0: D86CA240 D2000044
	ds_read_b32 v211, v68 offset:41568                         // 0000000188A8: D86CA260 D3000044
	s_mul_i32 s60, s7, 0x100                                   // 0000000188B0: 923CFF07 00000100
	v_lshlrev_b32_e32 v64, 2, v0                               // 0000000188B8: 24800082
	v_add_u32_e64 v64, v64, s60                                // 0000000188BC: D1340040 00007940
	s_waitcnt lgkmcnt(0)                                       // 0000000188C4: BF8CC07F
	buffer_store_dword v208, v64, s[8:11], 0 offen             // 0000000188C8: E0701000 8002D040
	buffer_store_dword v209, v64, s[8:11], 0 offen offset:1024 // 0000000188D0: E0701400 8002D140
	buffer_store_dword v210, v64, s[8:11], 0 offen offset:2048 // 0000000188D8: E0701800 8002D240
	buffer_store_dword v211, v64, s[8:11], 0 offen offset:3072 // 0000000188E0: E0701C00 8002D340
	s_add_u32 s8, s75, s8                                      // 0000000188E8: 8008084B
	s_addc_u32 s9, 0, s9                                       // 0000000188EC: 82090980
	v_mul_f32_e32 v216, v50, v216                              // 0000000188F0: 0BB1B132
	v_mul_f32_e32 v217, v50, v217                              // 0000000188F4: 0BB3B332
	v_mul_f32_e32 v218, v50, v218                              // 0000000188F8: 0BB5B532
	v_mul_f32_e32 v219, v50, v219                              // 0000000188FC: 0BB7B732
	v_mul_f32_e32 v220, v50, v220                              // 000000018900: 0BB9B932
	v_mul_f32_e32 v221, v50, v221                              // 000000018904: 0BBBBB32
	v_mul_f32_e32 v222, v50, v222                              // 000000018908: 0BBDBD32
	v_mul_f32_e32 v223, v50, v223                              // 00000001890C: 0BBFBF32
	v_mul_f32_e32 v184, v45, v184                              // 000000018910: 0B71712D
	v_mul_f32_e32 v185, v45, v185                              // 000000018914: 0B73732D
	v_mul_f32_e32 v186, v45, v186                              // 000000018918: 0B75752D
	v_mul_f32_e32 v187, v45, v187                              // 00000001891C: 0B77772D
	v_mul_f32_e32 v188, v45, v188                              // 000000018920: 0B79792D
	v_mul_f32_e32 v189, v45, v189                              // 000000018924: 0B7B7B2D
	v_mul_f32_e32 v190, v45, v190                              // 000000018928: 0B7D7D2D
	v_mul_f32_e32 v191, v45, v191                              // 00000001892C: 0B7F7F2D
	v_add_f32_e32 v216, v216, v184                             // 000000018930: 03B171D8
	v_add_f32_e32 v217, v217, v185                             // 000000018934: 03B373D9
	v_add_f32_e32 v218, v218, v186                             // 000000018938: 03B575DA
	v_add_f32_e32 v219, v219, v187                             // 00000001893C: 03B777DB
	v_add_f32_e32 v220, v220, v188                             // 000000018940: 03B979DC
	v_add_f32_e32 v221, v221, v189                             // 000000018944: 03BB7BDD
	v_add_f32_e32 v222, v222, v190                             // 000000018948: 03BD7DDE
	v_add_f32_e32 v223, v223, v191                             // 00000001894C: 03BF7FDF
	ds_write_b32 v8, v39 offset:16896                          // 000000018950: D81A4200 00002708
	s_waitcnt lgkmcnt(0)                                       // 000000018958: BF8CC07F
	s_barrier                                                  // 00000001895C: BF8A0000
	ds_read_b32 v64, v7 offset:16896                           // 000000018960: D86C4200 40000007
	ds_read_b32 v65, v7 offset:16960                           // 000000018968: D86C4240 41000007
	ds_read_b32 v66, v7 offset:17024                           // 000000018970: D86C4280 42000007
	ds_read_b32 v67, v7 offset:17088                           // 000000018978: D86C42C0 43000007
	ds_read_b32 v68, v7 offset:17152                           // 000000018980: D86C4300 44000007
	ds_read_b32 v69, v7 offset:17216                           // 000000018988: D86C4340 45000007
	ds_read_b32 v70, v7 offset:17280                           // 000000018990: D86C4380 46000007
	ds_read_b32 v71, v7 offset:17344                           // 000000018998: D86C43C0 47000007
	ds_read_b32 v72, v7 offset:17408                           // 0000000189A0: D86C4400 48000007
	ds_read_b32 v73, v7 offset:17472                           // 0000000189A8: D86C4440 49000007
	ds_read_b32 v74, v7 offset:17536                           // 0000000189B0: D86C4480 4A000007
	ds_read_b32 v75, v7 offset:17600                           // 0000000189B8: D86C44C0 4B000007
	ds_read_b32 v76, v7 offset:17664                           // 0000000189C0: D86C4500 4C000007
	ds_read_b32 v77, v7 offset:17728                           // 0000000189C8: D86C4540 4D000007
	ds_read_b32 v78, v7 offset:17792                           // 0000000189D0: D86C4580 4E000007
	ds_read_b32 v79, v7 offset:17856                           // 0000000189D8: D86C45C0 4F000007
	s_waitcnt lgkmcnt(0)                                       // 0000000189E0: BF8CC07F
	v_mov_b32_e32 v39, 0                                       // 0000000189E4: 7E4E0280
	v_add_f32_e32 v39, v64, v39                                // 0000000189E8: 024E4F40
	v_add_f32_e32 v39, v65, v39                                // 0000000189EC: 024E4F41
	v_add_f32_e32 v39, v66, v39                                // 0000000189F0: 024E4F42
	v_add_f32_e32 v39, v67, v39                                // 0000000189F4: 024E4F43
	v_add_f32_e32 v39, v68, v39                                // 0000000189F8: 024E4F44
	v_add_f32_e32 v39, v69, v39                                // 0000000189FC: 024E4F45
	v_add_f32_e32 v39, v70, v39                                // 000000018A00: 024E4F46
	v_add_f32_e32 v39, v71, v39                                // 000000018A04: 024E4F47
	v_add_f32_e32 v39, v72, v39                                // 000000018A08: 024E4F48
	v_add_f32_e32 v39, v73, v39                                // 000000018A0C: 024E4F49
	v_add_f32_e32 v39, v74, v39                                // 000000018A10: 024E4F4A
	v_add_f32_e32 v39, v75, v39                                // 000000018A14: 024E4F4B
	v_add_f32_e32 v39, v76, v39                                // 000000018A18: 024E4F4C
	v_add_f32_e32 v39, v77, v39                                // 000000018A1C: 024E4F4D
	v_add_f32_e32 v39, v78, v39                                // 000000018A20: 024E4F4E
	v_add_f32_e32 v39, v79, v39                                // 000000018A24: 024E4F4F
	s_nop 1                                                    // 000000018A28: BF800001
	v_rcp_f32_e32 v39, v39                                     // 000000018A2C: 7E4E4527
	s_nop 1                                                    // 000000018A30: BF800001
	v_mul_f32_e32 v216, v39, v216                              // 000000018A34: 0BB1B127
	v_mul_f32_e32 v217, v39, v217                              // 000000018A38: 0BB3B327
	v_mul_f32_e32 v218, v39, v218                              // 000000018A3C: 0BB5B527
	v_mul_f32_e32 v219, v39, v219                              // 000000018A40: 0BB7B727
	v_mul_f32_e32 v220, v39, v220                              // 000000018A44: 0BB9B927
	v_mul_f32_e32 v221, v39, v221                              // 000000018A48: 0BBBBB27
	v_mul_f32_e32 v222, v39, v222                              // 000000018A4C: 0BBDBD27
	v_mul_f32_e32 v223, v39, v223                              // 000000018A50: 0BBFBF27
	v_mov_b32_e32 v19, 0xffff0000                              // 000000018A54: 7E2602FF FFFF0000
	v_mov_b32_e32 v20, 0x7fff0000                              // 000000018A5C: 7E2802FF 7FFF0000
	v_mov_b32_e32 v21, 0x7fff                                  // 000000018A64: 7E2A02FF 00007FFF
	v_cvt_pkrtz_f16_f32 v64, v216, v217                        // 000000018A6C: D2960040 0003B3D8
	v_mov_b32_e32 v216, v64                                    // 000000018A74: 7FB00340
	v_cvt_pkrtz_f16_f32 v64, v218, v219                        // 000000018A78: D2960040 0003B7DA
	v_mov_b32_e32 v217, v64                                    // 000000018A80: 7FB20340
	v_cvt_pkrtz_f16_f32 v64, v220, v221                        // 000000018A84: D2960040 0003BBDC
	v_mov_b32_e32 v218, v64                                    // 000000018A8C: 7FB40340
	v_cvt_pkrtz_f16_f32 v64, v222, v223                        // 000000018A90: D2960040 0003BFDE
	v_mov_b32_e32 v219, v64                                    // 000000018A98: 7FB60340
	s_nop 1                                                    // 000000018A9C: BF800001
	v_lshrrev_b32_e32 v64, 4, v0                               // 000000018AA0: 20800084
	v_mul_i32_i24_e32 v68, 34, v64                             // 000000018AA4: 0C8880A2
	v_and_b32_e32 v64, 15, v0                                  // 000000018AA8: 2680008F
	v_mul_i32_i24_e32 v65, 2, v64                              // 000000018AAC: 0C828082
	v_add_u32_e32 v68, v65, v68                                // 000000018AB0: 68888941
	s_mul_i32 s60, s7, 0x88                                    // 000000018AB4: 923CFF07 00000088
	v_add_u32_e32 v68, s60, v68                                // 000000018ABC: 6888883C
	v_lshlrev_b32_e32 v68, 2, v68                              // 000000018AC0: 24888882
	ds_write_b64 v68, v[216:217] offset:41472                  // 000000018AC4: D89AA200 0000D844
	ds_write_b64 v68, v[218:219] offset:43648                  // 000000018ACC: D89AAA80 0000DA44
	v_lshrrev_b32_e32 v64, 1, v0                               // 000000018AD4: 20800081
	v_mul_i32_i24_e32 v68, 34, v64                             // 000000018AD8: 0C8880A2
	v_and_b32_e32 v65, 1, v0                                   // 000000018ADC: 26820081
	v_add_u32_e32 v68, v65, v68                                // 000000018AE0: 68888941
	s_mul_i32 s60, s7, 2                                       // 000000018AE4: 923C8207
	v_add_u32_e32 v68, s60, v68                                // 000000018AE8: 6888883C
	v_lshlrev_b32_e32 v68, 2, v68                              // 000000018AEC: 24888882
	s_waitcnt lgkmcnt(0)                                       // 000000018AF0: BF8CC07F
	s_barrier                                                  // 000000018AF4: BF8A0000
	ds_read_b32 v216, v68 offset:41472                         // 000000018AF8: D86CA200 D8000044
	ds_read_b32 v217, v68 offset:41504                         // 000000018B00: D86CA220 D9000044
	ds_read_b32 v218, v68 offset:41536                         // 000000018B08: D86CA240 DA000044
	ds_read_b32 v219, v68 offset:41568                         // 000000018B10: D86CA260 DB000044
	s_mul_i32 s60, s7, 0x100                                   // 000000018B18: 923CFF07 00000100
	v_lshlrev_b32_e32 v64, 2, v0                               // 000000018B20: 24800082
	v_add_u32_e64 v64, v64, s60                                // 000000018B24: D1340040 00007940
	s_waitcnt lgkmcnt(0)                                       // 000000018B2C: BF8CC07F
	buffer_store_dword v216, v64, s[8:11], 0 offen             // 000000018B30: E0701000 8002D840
	buffer_store_dword v217, v64, s[8:11], 0 offen offset:1024 // 000000018B38: E0701400 8002D940
	buffer_store_dword v218, v64, s[8:11], 0 offen offset:2048 // 000000018B40: E0701800 8002DA40
	buffer_store_dword v219, v64, s[8:11], 0 offen offset:3072 // 000000018B48: E0701C00 8002DB40
	s_add_u32 s8, s75, s8                                      // 000000018B50: 8008084B
	s_addc_u32 s9, 0, s9                                       // 000000018B54: 82090980
	v_mul_f32_e32 v224, v51, v224                              // 000000018B58: 0BC1C133
	v_mul_f32_e32 v225, v51, v225                              // 000000018B5C: 0BC3C333
	v_mul_f32_e32 v226, v51, v226                              // 000000018B60: 0BC5C533
	v_mul_f32_e32 v227, v51, v227                              // 000000018B64: 0BC7C733
	v_mul_f32_e32 v228, v51, v228                              // 000000018B68: 0BC9C933
	v_mul_f32_e32 v229, v51, v229                              // 000000018B6C: 0BCBCB33
	v_mul_f32_e32 v230, v51, v230                              // 000000018B70: 0BCDCD33
	v_mul_f32_e32 v231, v51, v231                              // 000000018B74: 0BCFCF33
	v_mul_f32_e32 v192, v46, v192                              // 000000018B78: 0B81812E
	v_mul_f32_e32 v193, v46, v193                              // 000000018B7C: 0B83832E
	v_mul_f32_e32 v194, v46, v194                              // 000000018B80: 0B85852E
	v_mul_f32_e32 v195, v46, v195                              // 000000018B84: 0B87872E
	v_mul_f32_e32 v196, v46, v196                              // 000000018B88: 0B89892E
	v_mul_f32_e32 v197, v46, v197                              // 000000018B8C: 0B8B8B2E
	v_mul_f32_e32 v198, v46, v198                              // 000000018B90: 0B8D8D2E
	v_mul_f32_e32 v199, v46, v199                              // 000000018B94: 0B8F8F2E
	v_add_f32_e32 v224, v224, v192                             // 000000018B98: 03C181E0
	v_add_f32_e32 v225, v225, v193                             // 000000018B9C: 03C383E1
	v_add_f32_e32 v226, v226, v194                             // 000000018BA0: 03C585E2
	v_add_f32_e32 v227, v227, v195                             // 000000018BA4: 03C787E3
	v_add_f32_e32 v228, v228, v196                             // 000000018BA8: 03C989E4
	v_add_f32_e32 v229, v229, v197                             // 000000018BAC: 03CB8BE5
	v_add_f32_e32 v230, v230, v198                             // 000000018BB0: 03CD8DE6
	v_add_f32_e32 v231, v231, v199                             // 000000018BB4: 03CF8FE7
	ds_write_b32 v8, v40 offset:16896                          // 000000018BB8: D81A4200 00002808
	s_waitcnt lgkmcnt(0)                                       // 000000018BC0: BF8CC07F
	s_barrier                                                  // 000000018BC4: BF8A0000
	ds_read_b32 v64, v7 offset:16896                           // 000000018BC8: D86C4200 40000007
	ds_read_b32 v65, v7 offset:16960                           // 000000018BD0: D86C4240 41000007
	ds_read_b32 v66, v7 offset:17024                           // 000000018BD8: D86C4280 42000007
	ds_read_b32 v67, v7 offset:17088                           // 000000018BE0: D86C42C0 43000007
	ds_read_b32 v68, v7 offset:17152                           // 000000018BE8: D86C4300 44000007
	ds_read_b32 v69, v7 offset:17216                           // 000000018BF0: D86C4340 45000007
	ds_read_b32 v70, v7 offset:17280                           // 000000018BF8: D86C4380 46000007
	ds_read_b32 v71, v7 offset:17344                           // 000000018C00: D86C43C0 47000007
	ds_read_b32 v72, v7 offset:17408                           // 000000018C08: D86C4400 48000007
	ds_read_b32 v73, v7 offset:17472                           // 000000018C10: D86C4440 49000007
	ds_read_b32 v74, v7 offset:17536                           // 000000018C18: D86C4480 4A000007
	ds_read_b32 v75, v7 offset:17600                           // 000000018C20: D86C44C0 4B000007
	ds_read_b32 v76, v7 offset:17664                           // 000000018C28: D86C4500 4C000007
	ds_read_b32 v77, v7 offset:17728                           // 000000018C30: D86C4540 4D000007
	ds_read_b32 v78, v7 offset:17792                           // 000000018C38: D86C4580 4E000007
	ds_read_b32 v79, v7 offset:17856                           // 000000018C40: D86C45C0 4F000007
	s_waitcnt lgkmcnt(0)                                       // 000000018C48: BF8CC07F
	v_mov_b32_e32 v40, 0                                       // 000000018C4C: 7E500280
	v_add_f32_e32 v40, v64, v40                                // 000000018C50: 02505140
	v_add_f32_e32 v40, v65, v40                                // 000000018C54: 02505141
	v_add_f32_e32 v40, v66, v40                                // 000000018C58: 02505142
	v_add_f32_e32 v40, v67, v40                                // 000000018C5C: 02505143
	v_add_f32_e32 v40, v68, v40                                // 000000018C60: 02505144
	v_add_f32_e32 v40, v69, v40                                // 000000018C64: 02505145
	v_add_f32_e32 v40, v70, v40                                // 000000018C68: 02505146
	v_add_f32_e32 v40, v71, v40                                // 000000018C6C: 02505147
	v_add_f32_e32 v40, v72, v40                                // 000000018C70: 02505148
	v_add_f32_e32 v40, v73, v40                                // 000000018C74: 02505149
	v_add_f32_e32 v40, v74, v40                                // 000000018C78: 0250514A
	v_add_f32_e32 v40, v75, v40                                // 000000018C7C: 0250514B
	v_add_f32_e32 v40, v76, v40                                // 000000018C80: 0250514C
	v_add_f32_e32 v40, v77, v40                                // 000000018C84: 0250514D
	v_add_f32_e32 v40, v78, v40                                // 000000018C88: 0250514E
	v_add_f32_e32 v40, v79, v40                                // 000000018C8C: 0250514F
	s_nop 1                                                    // 000000018C90: BF800001
	v_rcp_f32_e32 v40, v40                                     // 000000018C94: 7E504528
	s_nop 1                                                    // 000000018C98: BF800001
	v_mul_f32_e32 v224, v40, v224                              // 000000018C9C: 0BC1C128
	v_mul_f32_e32 v225, v40, v225                              // 000000018CA0: 0BC3C328
	v_mul_f32_e32 v226, v40, v226                              // 000000018CA4: 0BC5C528
	v_mul_f32_e32 v227, v40, v227                              // 000000018CA8: 0BC7C728
	v_mul_f32_e32 v228, v40, v228                              // 000000018CAC: 0BC9C928
	v_mul_f32_e32 v229, v40, v229                              // 000000018CB0: 0BCBCB28
	v_mul_f32_e32 v230, v40, v230                              // 000000018CB4: 0BCDCD28
	v_mul_f32_e32 v231, v40, v231                              // 000000018CB8: 0BCFCF28
	v_mov_b32_e32 v19, 0xffff0000                              // 000000018CBC: 7E2602FF FFFF0000
	v_mov_b32_e32 v20, 0x7fff0000                              // 000000018CC4: 7E2802FF 7FFF0000
	v_mov_b32_e32 v21, 0x7fff                                  // 000000018CCC: 7E2A02FF 00007FFF
	v_cvt_pkrtz_f16_f32 v64, v224, v225                        // 000000018CD4: D2960040 0003C3E0
	v_mov_b32_e32 v224, v64                                    // 000000018CDC: 7FC00340
	v_cvt_pkrtz_f16_f32 v64, v226, v227                        // 000000018CE0: D2960040 0003C7E2
	v_mov_b32_e32 v225, v64                                    // 000000018CE8: 7FC20340
	v_cvt_pkrtz_f16_f32 v64, v228, v229                        // 000000018CEC: D2960040 0003CBE4
	v_mov_b32_e32 v226, v64                                    // 000000018CF4: 7FC40340
	v_cvt_pkrtz_f16_f32 v64, v230, v231                        // 000000018CF8: D2960040 0003CFE6
	v_mov_b32_e32 v227, v64                                    // 000000018D00: 7FC60340
	s_nop 1                                                    // 000000018D04: BF800001
	v_lshrrev_b32_e32 v64, 4, v0                               // 000000018D08: 20800084
	v_mul_i32_i24_e32 v68, 34, v64                             // 000000018D0C: 0C8880A2
	v_and_b32_e32 v64, 15, v0                                  // 000000018D10: 2680008F
	v_mul_i32_i24_e32 v65, 2, v64                              // 000000018D14: 0C828082
	v_add_u32_e32 v68, v65, v68                                // 000000018D18: 68888941
	s_mul_i32 s60, s7, 0x88                                    // 000000018D1C: 923CFF07 00000088
	v_add_u32_e32 v68, s60, v68                                // 000000018D24: 6888883C
	v_lshlrev_b32_e32 v68, 2, v68                              // 000000018D28: 24888882
	ds_write_b64 v68, v[224:225] offset:41472                  // 000000018D2C: D89AA200 0000E044
	ds_write_b64 v68, v[226:227] offset:43648                  // 000000018D34: D89AAA80 0000E244
	v_lshrrev_b32_e32 v64, 1, v0                               // 000000018D3C: 20800081
	v_mul_i32_i24_e32 v68, 34, v64                             // 000000018D40: 0C8880A2
	v_and_b32_e32 v65, 1, v0                                   // 000000018D44: 26820081
	v_add_u32_e32 v68, v65, v68                                // 000000018D48: 68888941
	s_mul_i32 s60, s7, 2                                       // 000000018D4C: 923C8207
	v_add_u32_e32 v68, s60, v68                                // 000000018D50: 6888883C
	v_lshlrev_b32_e32 v68, 2, v68                              // 000000018D54: 24888882
	s_waitcnt lgkmcnt(0)                                       // 000000018D58: BF8CC07F
	s_barrier                                                  // 000000018D5C: BF8A0000
	ds_read_b32 v224, v68 offset:41472                         // 000000018D60: D86CA200 E0000044
	ds_read_b32 v225, v68 offset:41504                         // 000000018D68: D86CA220 E1000044
	ds_read_b32 v226, v68 offset:41536                         // 000000018D70: D86CA240 E2000044
	ds_read_b32 v227, v68 offset:41568                         // 000000018D78: D86CA260 E3000044
	s_mul_i32 s60, s7, 0x100                                   // 000000018D80: 923CFF07 00000100
	v_lshlrev_b32_e32 v64, 2, v0                               // 000000018D88: 24800082
	v_add_u32_e64 v64, v64, s60                                // 000000018D8C: D1340040 00007940
	s_waitcnt lgkmcnt(0)                                       // 000000018D94: BF8CC07F
	buffer_store_dword v224, v64, s[8:11], 0 offen             // 000000018D98: E0701000 8002E040
	buffer_store_dword v225, v64, s[8:11], 0 offen offset:1024 // 000000018DA0: E0701400 8002E140
	buffer_store_dword v226, v64, s[8:11], 0 offen offset:2048 // 000000018DA8: E0701800 8002E240
	buffer_store_dword v227, v64, s[8:11], 0 offen offset:3072 // 000000018DB0: E0701C00 8002E340
	s_add_u32 s8, s75, s8                                      // 000000018DB8: 8008084B
	s_addc_u32 s9, 0, s9                                       // 000000018DBC: 82090980

0000000000018dc0 <label_5AF0>:
	s_branch label_94D0                                        // 000000018DC0: BF8239DF

0000000000018dc4 <label_5AF1>:
	s_mul_i32 s60, s3, s65                                     // 000000018DC4: 923C4103
	s_mul_i32 s60, s60, 4                                      // 000000018DC8: 923C843C
	s_add_u32 s24, s60, s24                                    // 000000018DCC: 8018183C
	s_addc_u32 s25, 0, s25                                     // 000000018DD0: 82191980
	s_mov_b32 s56, 64                                          // 000000018DD4: BEB800C0
	s_add_u32 s73, s72, 15                                     // 000000018DD8: 80498F48
	s_lshr_b32 s73, s73, 4                                     // 000000018DDC: 8F498449
	s_mul_i32 s60, s73, 4                                      // 000000018DE0: 923C8449
	s_mov_b32 s26, s60                                         // 000000018DE4: BE9A003C
	v_and_b32_e32 v65, 3, v0                                   // 000000018DE8: 26820083
	v_cmp_eq_u32_e64 s[60:61], 0, v65                          // 000000018DEC: D0CA003C 00028280
	v_and_b32_e32 v64, 12, v0                                  // 000000018DF4: 2680008C
	v_add_u32_e32 v1, s7, v64                                  // 000000018DF8: 68028007
	v_cndmask_b32_e64 v1, 0, v1, s[60:61]                      // 000000018DFC: D1000001 00F20280
	v_and_b32_e32 v65, 3, v0                                   // 000000018E04: 26820083
	v_cmp_eq_u32_e64 s[60:61], 1, v65                          // 000000018E08: D0CA003C 00028281
	v_lshrrev_b32_e32 v64, 4, v0                               // 000000018E10: 20800084
	v_and_b32_e32 v65, 12, v0                                  // 000000018E14: 2682008C
	v_add_u32_e32 v64, v65, v64                                // 000000018E18: 68808141
	v_cndmask_b32_e64 v64, 0, v64, s[60:61]                    // 000000018E1C: D1000040 00F28080
	v_add_u32_e32 v1, v1, v64                                  // 000000018E24: 68028101
	v_lshlrev_b32_e32 v1, 2, v1                                // 000000018E28: 24020282
	buffer_load_dword v16, v1, s[24:27], 0 offen               // 000000018E2C: E0501000 80061001
	v_add_u32_e32 v1, s56, v1                                  // 000000018E34: 68020238
	buffer_load_dword v17, v1, s[24:27], 0 offen               // 000000018E38: E0501000 80061101
	s_cmp_le_u32 s73, 32                                       // 000000018E40: BF0BA049
	s_cselect_b32 s56, 0, s56                                  // 000000018E44: 85383880
	s_mul_i32 s60, s2, s67                                     // 000000018E48: 923C4302
	s_mul_i32 s61, s84, s74                                    // 000000018E4C: 923D4A54
	s_add_u32 s60, s60, s61                                    // 000000018E50: 803C3D3C
	s_add_u32 s12, s60, s12                                    // 000000018E54: 800C0C3C
	s_addc_u32 s13, 0, s13                                     // 000000018E58: 820D0D80
	s_mul_i32 s60, s7, 0x108                                   // 000000018E5C: 923CFF07 00000108
	s_add_u32 m0, 0, s60                                       // 000000018E64: 807C3C80
	s_mul_i32 s60, s7, 0x100                                   // 000000018E68: 923CFF07 00000100
	v_lshlrev_b32_e32 v64, 2, v0                               // 000000018E70: 24800082
	v_add_u32_e64 v64, v64, s60                                // 000000018E74: D1340040 00007940
	v_add_u32_e32 v65, 0x400, v64                              // 000000018E7C: 688280FF 00000400
	v_add_u32_e32 v66, 0x800, v64                              // 000000018E84: 688480FF 00000800
	v_add_u32_e32 v67, 0xc00, v64                              // 000000018E8C: 688680FF 00000C00
	buffer_load_dword v64, s[12:15], 0 offen lds               // 000000018E94: E0511000 80030040
	s_mul_i32 s60, 4, 0x108                                    // 000000018E9C: 923CFF84 00000108
	s_add_u32 m0, m0, s60                                      // 000000018EA4: 807C3C7C
	buffer_load_dword v65, s[12:15], 0 offen lds               // 000000018EA8: E0511000 80030041
	s_mul_i32 s60, 4, 0x108                                    // 000000018EB0: 923CFF84 00000108
	s_add_u32 m0, m0, s60                                      // 000000018EB8: 807C3C7C
	buffer_load_dword v66, s[12:15], 0 offen lds               // 000000018EBC: E0511000 80030042
	s_mul_i32 s60, 4, 0x108                                    // 000000018EC4: 923CFF84 00000108
	s_add_u32 m0, m0, s60                                      // 000000018ECC: 807C3C7C
	buffer_load_dword v67, s[12:15], 0 offen lds               // 000000018ED0: E0511000 80030043
	s_mul_i32 s60, 4, 0x108                                    // 000000018ED8: 923CFF84 00000108
	s_add_u32 m0, m0, s60                                      // 000000018EE0: 807C3C7C
	s_add_u32 s12, s74, s12                                    // 000000018EE4: 800C0C4A
	s_addc_u32 s13, 0, s13                                     // 000000018EE8: 820D0D80
	buffer_load_dword v64, s[12:15], 0 offen lds               // 000000018EEC: E0511000 80030040
	s_mul_i32 s60, 4, 0x108                                    // 000000018EF4: 923CFF84 00000108
	s_add_u32 m0, m0, s60                                      // 000000018EFC: 807C3C7C
	buffer_load_dword v65, s[12:15], 0 offen lds               // 000000018F00: E0511000 80030041
	s_mul_i32 s60, 4, 0x108                                    // 000000018F08: 923CFF84 00000108
	s_add_u32 m0, m0, s60                                      // 000000018F10: 807C3C7C
	buffer_load_dword v66, s[12:15], 0 offen lds               // 000000018F14: E0511000 80030042
	s_mul_i32 s60, 4, 0x108                                    // 000000018F1C: 923CFF84 00000108
	s_add_u32 m0, m0, s60                                      // 000000018F24: 807C3C7C
	buffer_load_dword v67, s[12:15], 0 offen lds               // 000000018F28: E0511000 80030043
	s_mul_i32 s60, 4, 0x108                                    // 000000018F30: 923CFF84 00000108
	s_add_u32 m0, m0, s60                                      // 000000018F38: 807C3C7C
	s_add_u32 s12, s74, s12                                    // 000000018F3C: 800C0C4A
	s_addc_u32 s13, 0, s13                                     // 000000018F40: 820D0D80
	buffer_load_dword v64, s[12:15], 0 offen lds               // 000000018F44: E0511000 80030040
	s_mul_i32 s60, 4, 0x108                                    // 000000018F4C: 923CFF84 00000108
	s_add_u32 m0, m0, s60                                      // 000000018F54: 807C3C7C
	buffer_load_dword v65, s[12:15], 0 offen lds               // 000000018F58: E0511000 80030041
	s_mul_i32 s60, 4, 0x108                                    // 000000018F60: 923CFF84 00000108
	s_add_u32 m0, m0, s60                                      // 000000018F68: 807C3C7C
	buffer_load_dword v66, s[12:15], 0 offen lds               // 000000018F6C: E0511000 80030042
	s_mul_i32 s60, 4, 0x108                                    // 000000018F74: 923CFF84 00000108
	s_add_u32 m0, m0, s60                                      // 000000018F7C: 807C3C7C
	buffer_load_dword v67, s[12:15], 0 offen lds               // 000000018F80: E0511000 80030043
	s_mul_i32 s60, 4, 0x108                                    // 000000018F88: 923CFF84 00000108
	s_add_u32 m0, m0, s60                                      // 000000018F90: 807C3C7C
	s_add_u32 s12, s74, s12                                    // 000000018F94: 800C0C4A
	s_addc_u32 s13, 0, s13                                     // 000000018F98: 820D0D80
	buffer_load_dword v64, s[12:15], 0 offen lds               // 000000018F9C: E0511000 80030040
	s_mul_i32 s60, 4, 0x108                                    // 000000018FA4: 923CFF84 00000108
	s_add_u32 m0, m0, s60                                      // 000000018FAC: 807C3C7C
	buffer_load_dword v65, s[12:15], 0 offen lds               // 000000018FB0: E0511000 80030041
	s_mul_i32 s60, 4, 0x108                                    // 000000018FB8: 923CFF84 00000108
	s_add_u32 m0, m0, s60                                      // 000000018FC0: 807C3C7C
	buffer_load_dword v66, s[12:15], 0 offen lds               // 000000018FC4: E0511000 80030042
	s_mul_i32 s60, 4, 0x108                                    // 000000018FCC: 923CFF84 00000108
	s_add_u32 m0, m0, s60                                      // 000000018FD4: 807C3C7C
	buffer_load_dword v67, s[12:15], 0 offen lds               // 000000018FD8: E0511000 80030043
	s_mul_i32 s60, 4, 0x108                                    // 000000018FE0: 923CFF84 00000108
	s_add_u32 m0, m0, s60                                      // 000000018FE8: 807C3C7C
	s_add_u32 s12, s74, s12                                    // 000000018FEC: 800C0C4A
	s_addc_u32 s13, 0, s13                                     // 000000018FF0: 820D0D80
	v_lshrrev_b32_e32 v64, 4, v0                               // 000000018FF4: 20800084
	v_lshlrev_b32_e32 v64, 2, v64                              // 000000018FF8: 24808082
	v_and_b32_e32 v65, 3, v0                                   // 000000018FFC: 26820083
	v_add_u32_e32 v64, v65, v64                                // 000000019000: 68808141
	v_lshlrev_b32_e32 v59, 2, v64                              // 000000019004: 24768082
	v_mov_b32_e32 v60, v59                                     // 000000019008: 7E78033B
	s_mul_i32 s60, s2, 64                                      // 00000001900C: 923CC002
	s_add_u32 s32, s60, s32                                    // 000000019010: 8020203C
	s_addc_u32 s33, 0, s33                                     // 000000019014: 82212180
	s_add_u32 s36, s60, s36                                    // 000000019018: 8024243C
	s_addc_u32 s37, 0, s37                                     // 00000001901C: 82252580
	s_mul_i32 s60, s2, s76                                     // 000000019020: 923C4C02
	s_mul_i32 s61, s84, s75                                    // 000000019024: 923D4B54
	s_add_u32 s60, s60, s61                                    // 000000019028: 803C3D3C
	s_add_u32 s8, s60, s8                                      // 00000001902C: 8008083C
	s_addc_u32 s9, 0, s9                                       // 000000019030: 82090980
	s_mov_b32 s70, 0                                           // 000000019034: BEC60080
	s_and_b32 s71, s72, 0xffffff00                             // 000000019038: 8647FF48 FFFFFF00
	s_mov_b32 s42, 0xff00ff00                                  // 000000019040: BEAA00FF FF00FF00
	s_mov_b32 s43, 0xff00ff00                                  // 000000019048: BEAB00FF FF00FF00
	s_mov_b32 s44, 0xf0f0f0f0                                  // 000000019050: BEAC00FF F0F0F0F0
	s_mov_b32 s45, 0xf0f0f0f0                                  // 000000019058: BEAD00FF F0F0F0F0
	s_mov_b32 s78, 0xff00ff                                    // 000000019060: BECE00FF 00FF00FF
	s_mov_b32 s79, 0xff00ff                                    // 000000019068: BECF00FF 00FF00FF
	v_mul_i32_i24_e64 v63, 64, s66                             // 000000019070: D106003F 000084C0
	v_mov_b32_e32 v54, s68                                     // 000000019078: 7E6C0244
	s_mov_b32 s52, 0x7060302                                   // 00000001907C: BEB400FF 07060302
	s_mov_b32 s53, 0x400                                       // 000000019084: BEB500FF 00000400
	s_mov_b32 s54, 0x40100                                     // 00000001908C: BEB600FF 00040100
	s_mov_b32 s55, 0x4020100                                   // 000000019094: BEB700FF 04020100
	s_mov_b32 s6, 0x3fb8aa3b                                   // 00000001909C: BE8600FF 3FB8AA3B
	v_mov_b32_e32 v11, 0xff800000                              // 0000000190A4: 7E1602FF FF800000
	v_mov_b32_e32 v12, 0xff800000                              // 0000000190AC: 7E1802FF FF800000
	v_mov_b32_e32 v49, 0                                       // 0000000190B4: 7E620280
	v_mov_b32_e32 v50, 0                                       // 0000000190B8: 7E640280
	v_mov_b32_e32 v51, 0                                       // 0000000190BC: 7E660280
	v_mov_b32_e32 v52, 0                                       // 0000000190C0: 7E680280
	v_mov_b32_e32 v38, 0                                       // 0000000190C4: 7E4C0280
	v_mov_b32_e32 v39, 0                                       // 0000000190C8: 7E4E0280
	v_mov_b32_e32 v40, 0                                       // 0000000190CC: 7E500280
	v_mov_b32_e32 v41, 0                                       // 0000000190D0: 7E520280
	v_mov_b32_e32 v44, 0                                       // 0000000190D4: 7E580280
	v_mov_b32_e32 v45, 0                                       // 0000000190D8: 7E5A0280
	v_mov_b32_e32 v46, 0                                       // 0000000190DC: 7E5C0280
	v_mov_b32_e32 v47, 0                                       // 0000000190E0: 7E5E0280
	v_add_u32_e32 v1, s56, v1                                  // 0000000190E4: 68020238
	v_and_b32_e32 v7, 15, v0                                   // 0000000190E8: 260E008F
	v_lshlrev_b32_e32 v7, 2, v7                                // 0000000190EC: 240E0E82
	v_lshlrev_b32_e32 v8, 2, v0                                // 0000000190F0: 24100082
	s_mul_i32 s60, 0x100, s7                                   // 0000000190F4: 923C07FF 00000100
	v_add_u32_e32 v8, s60, v8                                  // 0000000190FC: 6810103C
	v_lshrrev_b32_e32 v64, 4, v0                               // 000000019100: 20800084
	v_lshlrev_b32_e32 v65, 6, v64                              // 000000019104: 24828086
	v_and_b32_e32 v64, 15, v0                                  // 000000019108: 2680008F
	v_lshlrev_b32_e32 v64, 1, v64                              // 00000001910C: 24808081
	v_add_u32_e32 v65, v64, v65                                // 000000019110: 68828340
	v_lshlrev_b32_e32 v9, 2, v65                               // 000000019114: 24128282
	v_lshrrev_b32_e32 v64, 5, v0                               // 000000019118: 20800085
	v_lshlrev_b32_e32 v65, 5, v64                              // 00000001911C: 24828085
	v_and_b32_e32 v64, 31, v0                                  // 000000019120: 2680009F
	v_lshrrev_b32_e32 v66, 4, v64                              // 000000019124: 20848084
	v_add_u32_e32 v65, v66, v65                                // 000000019128: 68828342
	v_and_b32_e32 v64, 15, v0                                  // 00000001912C: 2680008F
	v_lshlrev_b32_e32 v64, 1, v64                              // 000000019130: 24808081
	v_add_u32_e32 v65, v64, v65                                // 000000019134: 68828340
	v_lshlrev_b32_e32 v64, 2, v65                              // 000000019138: 24808282
	s_mul_i32 s60, 0x100, s7                                   // 00000001913C: 923C07FF 00000100
	v_add_u32_e64 v10, v64, s60                                // 000000019144: D134000A 00007940
	v_lshlrev_b32_e32 v5, 4, v0                                // 00000001914C: 240A0084
	s_mul_i32 s60, s2, s69                                     // 000000019150: 923C4502
	s_add_u32 s16, s60, s16                                    // 000000019154: 8010103C
	s_addc_u32 s17, 0, s17                                     // 000000019158: 82111180
	v_and_b32_e32 v64, 15, v0                                  // 00000001915C: 2680008F
	v_lshlrev_b32_e32 v6, 4, v64                               // 000000019160: 240C8084
	s_mul_i32 s61, s2, s69                                     // 000000019164: 923D4502
	s_mul_i32 s60, s7, 0x100                                   // 000000019168: 923CFF07 00000100
	s_add_u32 s60, s60, s61                                    // 000000019170: 803C3D3C
	s_add_u32 s20, s60, s20                                    // 000000019174: 8014143C
	s_addc_u32 s21, 0, s21                                     // 000000019178: 82151580
	s_waitcnt vmcnt(4)                                         // 00000001917C: BF8C0F74
	v_mul_u32_u24_dpp v64, v16, v54 row_newbcast:0 row_mask:0xf bank_mask:0xf// 000000019180: 10806CFA FF015010
	v_mul_u32_u24_dpp v65, v16, v54 row_newbcast:4 row_mask:0xf bank_mask:0xf// 000000019188: 10826CFA FF015410
	v_mul_u32_u24_dpp v66, v16, v54 row_newbcast:8 row_mask:0xf bank_mask:0xf// 000000019190: 10846CFA FF015810
	v_mul_u32_u24_dpp v67, v16, v54 row_newbcast:12 row_mask:0xf bank_mask:0xf// 000000019198: 10866CFA FF015C10
	v_add_u32_e32 v22, v64, v5                                 // 0000000191A0: 682C0B40
	v_add_u32_e32 v23, v65, v5                                 // 0000000191A4: 682E0B41
	v_add_u32_e32 v24, v66, v5                                 // 0000000191A8: 68300B42
	v_add_u32_e32 v25, v67, v5                                 // 0000000191AC: 68320B43
	v_mul_u32_u24_dpp v64, v16, v54 row_newbcast:1 row_mask:0xf bank_mask:0xf// 0000000191B0: 10806CFA FF015110
	v_mul_u32_u24_dpp v65, v16, v54 row_newbcast:5 row_mask:0xf bank_mask:0xf// 0000000191B8: 10826CFA FF015510
	v_mul_u32_u24_dpp v66, v16, v54 row_newbcast:9 row_mask:0xf bank_mask:0xf// 0000000191C0: 10846CFA FF015910
	v_mul_u32_u24_dpp v67, v16, v54 row_newbcast:13 row_mask:0xf bank_mask:0xf// 0000000191C8: 10866CFA FF015D10
	v_add_u32_e32 v30, v64, v6                                 // 0000000191D0: 683C0D40
	v_add_u32_e32 v31, v65, v6                                 // 0000000191D4: 683E0D41
	v_add_u32_e32 v32, v66, v6                                 // 0000000191D8: 68400D42
	v_add_u32_e32 v33, v67, v6                                 // 0000000191DC: 68420D43
	v_mul_u32_u24_dpp v64, v16, v63 quad_perm:[0,0,0,0] row_mask:0xf bank_mask:0xf// 0000000191E0: 10807EFA FF000010
	v_add_u32_e32 v2, v64, v59                                 // 0000000191E8: 68047740
	v_mul_u32_u24_dpp v64, v16, v63 quad_perm:[0,0,0,0] row_mask:0xf bank_mask:0xf// 0000000191EC: 10807EFA FF000010
	v_add_u32_e32 v55, v64, v60                                // 0000000191F4: 686E7940
	buffer_load_dword v42, v2, s[32:35], 0 offen               // 0000000191F8: E0501000 80082A02
	buffer_load_dwordx4 a[0:3], v22, s[16:19], 0 offen         // 000000019200: E05C1000 80840016
	buffer_load_dwordx4 a[4:7], v22, s[16:19], 0 offen offset:1024// 000000019208: E05C1400 80840416
	buffer_load_dwordx4 a[8:11], v23, s[16:19], 0 offen        // 000000019210: E05C1000 80840817
	buffer_load_dwordx4 a[12:15], v23, s[16:19], 0 offen offset:1024// 000000019218: E05C1400 80840C17
	buffer_load_dwordx4 a[16:19], v24, s[16:19], 0 offen       // 000000019220: E05C1000 80841018
	buffer_load_dwordx4 a[20:23], v24, s[16:19], 0 offen offset:1024// 000000019228: E05C1400 80841418
	buffer_load_dwordx4 a[24:27], v25, s[16:19], 0 offen       // 000000019230: E05C1000 80841819
	buffer_load_dwordx4 a[28:31], v25, s[16:19], 0 offen offset:1024// 000000019238: E05C1400 80841C19
	buffer_load_dword v57, v55, s[36:39], 0 offen              // 000000019240: E0501000 80093937
	buffer_load_dwordx4 a[64:67], v30, s[20:23], 0 offen       // 000000019248: E05C1000 8085401E
	buffer_load_dwordx4 a[68:71], v31, s[20:23], 0 offen       // 000000019250: E05C1000 8085441F
	buffer_load_dwordx4 a[72:75], v32, s[20:23], 0 offen       // 000000019258: E05C1000 80854820
	buffer_load_dwordx4 a[76:79], v33, s[20:23], 0 offen       // 000000019260: E05C1000 80854C21
	buffer_load_dwordx4 a[80:83], v30, s[20:23], 0 offen offset:1024// 000000019268: E05C1400 8085501E
	buffer_load_dwordx4 a[84:87], v31, s[20:23], 0 offen offset:1024// 000000019270: E05C1400 8085541F
	buffer_load_dwordx4 a[88:91], v32, s[20:23], 0 offen offset:1024// 000000019278: E05C1400 80855820
	buffer_load_dwordx4 a[92:95], v33, s[20:23], 0 offen offset:1024// 000000019280: E05C1400 80855C21
	v_lshrrev_b32_e32 v64, 4, v0                               // 000000019288: 20800084
	v_lshlrev_b32_e32 v65, 1, v64                              // 00000001928C: 24828081
	v_and_b32_e32 v64, 15, v0                                  // 000000019290: 2680008F
	v_mul_i32_i24_e32 v64, 0x42, v64                           // 000000019294: 0C8080FF 00000042
	v_add_u32_e32 v65, v64, v65                                // 00000001929C: 68828340
	v_lshlrev_b32_e32 v4, 2, v65                               // 0000000192A0: 24088282
	s_mul_i32 s60, s7, 32                                      // 0000000192A4: 923CA007
	v_add_u32_e32 v4, s60, v4                                  // 0000000192A8: 6808083C
	s_waitcnt vmcnt(16) lgkmcnt(0)                             // 0000000192AC: BF8C4070
	s_barrier                                                  // 0000000192B0: BF8A0000
	ds_read_b64 v[80:81], v4                                   // 0000000192B4: D8EC0000 50000004
	ds_read_b64 v[84:85], v4 offset:128                        // 0000000192BC: D8EC0080 54000004
	s_waitcnt lgkmcnt(0)                                       // 0000000192C4: BF8CC07F
	v_and_b32_e32 v64, 0xffff, v80                             // 0000000192C8: 2680A0FF 0000FFFF
	v_lshrrev_b32_e32 v65, 16, v80                             // 0000000192D0: 2082A090
	v_and_b32_e32 v66, 0xffff, v81                             // 0000000192D4: 2684A2FF 0000FFFF
	v_lshrrev_b32_e32 v67, 16, v81                             // 0000000192DC: 2086A290
	v_cvt_f32_f16_e32 v80, v64                                 // 0000000192E0: 7EA01740
	v_cvt_f32_f16_e32 v81, v65                                 // 0000000192E4: 7EA21741
	v_cvt_f32_f16_e32 v82, v66                                 // 0000000192E8: 7EA41742
	v_cvt_f32_f16_e32 v83, v67                                 // 0000000192EC: 7EA61743
	v_and_b32_e32 v64, 0xffff, v84                             // 0000000192F0: 2680A8FF 0000FFFF
	v_lshrrev_b32_e32 v65, 16, v84                             // 0000000192F8: 2082A890
	v_and_b32_e32 v66, 0xffff, v85                             // 0000000192FC: 2684AAFF 0000FFFF
	v_lshrrev_b32_e32 v67, 16, v85                             // 000000019304: 2086AA90
	v_cvt_f32_f16_e32 v84, v64                                 // 000000019308: 7EA81740
	v_cvt_f32_f16_e32 v85, v65                                 // 00000001930C: 7EAA1741
	v_cvt_f32_f16_e32 v86, v66                                 // 000000019310: 7EAC1742
	v_cvt_f32_f16_e32 v87, v67                                 // 000000019314: 7EAE1743
	v_mov_b32_e32 v48, 0x358637bd                              // 000000019318: 7E6002FF 358637BD
	v_max3_f32 v48, |v80|, |v81|, v48                          // 000000019320: D1D30330 04C2A350
	v_max3_f32 v48, |v82|, |v83|, v48                          // 000000019328: D1D30330 04C2A752
	v_max3_f32 v48, |v84|, |v85|, v48                          // 000000019330: D1D30330 04C2AB54
	v_max3_f32 v48, |v86|, |v87|, v48                          // 000000019338: D1D30330 04C2AF56
	ds_write_b32 v8, v48 offset:16896                          // 000000019340: D81A4200 00003008
	s_waitcnt lgkmcnt(0)                                       // 000000019348: BF8CC07F
	s_barrier                                                  // 00000001934C: BF8A0000
	ds_read_b32 v64, v7 offset:16896                           // 000000019350: D86C4200 40000007
	ds_read_b32 v65, v7 offset:16960                           // 000000019358: D86C4240 41000007
	ds_read_b32 v66, v7 offset:17024                           // 000000019360: D86C4280 42000007
	ds_read_b32 v67, v7 offset:17088                           // 000000019368: D86C42C0 43000007
	ds_read_b32 v68, v7 offset:17152                           // 000000019370: D86C4300 44000007
	ds_read_b32 v69, v7 offset:17216                           // 000000019378: D86C4340 45000007
	ds_read_b32 v70, v7 offset:17280                           // 000000019380: D86C4380 46000007
	ds_read_b32 v71, v7 offset:17344                           // 000000019388: D86C43C0 47000007
	ds_read_b32 v72, v7 offset:17408                           // 000000019390: D86C4400 48000007
	ds_read_b32 v73, v7 offset:17472                           // 000000019398: D86C4440 49000007
	ds_read_b32 v74, v7 offset:17536                           // 0000000193A0: D86C4480 4A000007
	ds_read_b32 v75, v7 offset:17600                           // 0000000193A8: D86C44C0 4B000007
	ds_read_b32 v76, v7 offset:17664                           // 0000000193B0: D86C4500 4C000007
	ds_read_b32 v77, v7 offset:17728                           // 0000000193B8: D86C4540 4D000007
	ds_read_b32 v78, v7 offset:17792                           // 0000000193C0: D86C4580 4E000007
	ds_read_b32 v79, v7 offset:17856                           // 0000000193C8: D86C45C0 4F000007
	s_waitcnt lgkmcnt(0)                                       // 0000000193D0: BF8CC07F
	v_max3_f32 v48, |v64|, |v65|, v48                          // 0000000193D4: D1D30330 04C28340
	v_max3_f32 v48, |v66|, |v67|, v48                          // 0000000193DC: D1D30330 04C28742
	v_max3_f32 v48, |v68|, |v69|, v48                          // 0000000193E4: D1D30330 04C28B44
	v_max3_f32 v48, |v70|, |v71|, v48                          // 0000000193EC: D1D30330 04C28F46
	v_max3_f32 v48, |v72|, |v73|, v48                          // 0000000193F4: D1D30330 04C29348
	v_max3_f32 v48, |v74|, |v75|, v48                          // 0000000193FC: D1D30330 04C2974A
	v_max3_f32 v48, |v76|, |v77|, v48                          // 000000019404: D1D30330 04C29B4C
	v_max3_f32 v48, |v78|, |v79|, v48                          // 00000001940C: D1D30330 04C29F4E
	v_rcp_f32_e32 v48, v48                                     // 000000019414: 7E604530
	s_nop 1                                                    // 000000019418: BF800001
	v_mul_f32_e32 v48, 0x43e00000, v48                         // 00000001941C: 0A6060FF 43E00000
	v_mul_f32_e32 v80, v48, v80                                // 000000019424: 0AA0A130
	v_mul_f32_e32 v81, v48, v81                                // 000000019428: 0AA2A330
	v_mul_f32_e32 v82, v48, v82                                // 00000001942C: 0AA4A530
	v_mul_f32_e32 v83, v48, v83                                // 000000019430: 0AA6A730
	v_mul_f32_e32 v84, v48, v84                                // 000000019434: 0AA8A930
	v_mul_f32_e32 v85, v48, v85                                // 000000019438: 0AAAAB30
	v_mul_f32_e32 v86, v48, v86                                // 00000001943C: 0AACAD30
	v_mul_f32_e32 v87, v48, v87                                // 000000019440: 0AAEAF30
	v_rcp_f32_e32 v18, v48                                     // 000000019444: 7E244530
	v_cvt_pk_fp8_f32 v80, v80, v81                             // 000000019448: D2A20050 0002A350
	v_cvt_pk_fp8_f32 v80, v82, v83 op_sel:[0,0,1]              // 000000019450: D2A24050 0002A752
	v_cvt_pk_fp8_f32 v81, v84, v85                             // 000000019458: D2A20051 0002AB54
	v_cvt_pk_fp8_f32 v81, v86, v87 op_sel:[0,0,1]              // 000000019460: D2A24051 0002AF56
	ds_write_b32 v10, v80 offset:25088                         // 000000019468: D81A6200 0000500A
	ds_write_b32 v10, v81 offset:26112                         // 000000019470: D81A6600 0000510A
	s_waitcnt lgkmcnt(0)                                       // 000000019478: BF8CC07F
	s_barrier                                                  // 00000001947C: BF8A0000
	ds_read_b64 v[80:81], v9 offset:25088                      // 000000019480: D8EC6200 50000009
	ds_read_b64 v[82:83], v9 offset:25216                      // 000000019488: D8EC6280 52000009
	ds_read_b64 v[84:85], v9 offset:26112                      // 000000019490: D8EC6600 54000009
	ds_read_b64 v[86:87], v9 offset:26240                      // 000000019498: D8EC6680 56000009
	v_mov_b32_e32 v208, 0                                      // 0000000194A0: 7FA00280
	v_mov_b32_e32 v209, 0                                      // 0000000194A4: 7FA20280
	v_mov_b32_e32 v210, 0                                      // 0000000194A8: 7FA40280
	v_mov_b32_e32 v211, 0                                      // 0000000194AC: 7FA60280
	v_mov_b32_e32 v212, 0                                      // 0000000194B0: 7FA80280
	v_mov_b32_e32 v213, 0                                      // 0000000194B4: 7FAA0280
	v_mov_b32_e32 v214, 0                                      // 0000000194B8: 7FAC0280
	v_mov_b32_e32 v215, 0                                      // 0000000194BC: 7FAE0280
	v_mov_b32_e32 v176, 0                                      // 0000000194C0: 7F600280
	v_mov_b32_e32 v177, 0                                      // 0000000194C4: 7F620280
	v_mov_b32_e32 v178, 0                                      // 0000000194C8: 7F640280
	v_mov_b32_e32 v179, 0                                      // 0000000194CC: 7F660280
	v_mov_b32_e32 v180, 0                                      // 0000000194D0: 7F680280
	v_mov_b32_e32 v181, 0                                      // 0000000194D4: 7F6A0280
	v_mov_b32_e32 v182, 0                                      // 0000000194D8: 7F6C0280
	v_mov_b32_e32 v183, 0                                      // 0000000194DC: 7F6E0280
	ds_read_b64 v[88:89], v4 offset:4224                       // 0000000194E0: D8EC1080 58000004
	ds_read_b64 v[92:93], v4 offset:4352                       // 0000000194E8: D8EC1100 5C000004
	s_waitcnt lgkmcnt(0)                                       // 0000000194F0: BF8CC07F
	v_and_b32_e32 v64, 0xffff, v88                             // 0000000194F4: 2680B0FF 0000FFFF
	v_lshrrev_b32_e32 v65, 16, v88                             // 0000000194FC: 2082B090
	v_and_b32_e32 v66, 0xffff, v89                             // 000000019500: 2684B2FF 0000FFFF
	v_lshrrev_b32_e32 v67, 16, v89                             // 000000019508: 2086B290
	v_cvt_f32_f16_e32 v88, v64                                 // 00000001950C: 7EB01740
	v_cvt_f32_f16_e32 v89, v65                                 // 000000019510: 7EB21741
	v_cvt_f32_f16_e32 v90, v66                                 // 000000019514: 7EB41742
	v_cvt_f32_f16_e32 v91, v67                                 // 000000019518: 7EB61743
	v_and_b32_e32 v64, 0xffff, v92                             // 00000001951C: 2680B8FF 0000FFFF
	v_lshrrev_b32_e32 v65, 16, v92                             // 000000019524: 2082B890
	v_and_b32_e32 v66, 0xffff, v93                             // 000000019528: 2684BAFF 0000FFFF
	v_lshrrev_b32_e32 v67, 16, v93                             // 000000019530: 2086BA90
	v_cvt_f32_f16_e32 v92, v64                                 // 000000019534: 7EB81740
	v_cvt_f32_f16_e32 v93, v65                                 // 000000019538: 7EBA1741
	v_cvt_f32_f16_e32 v94, v66                                 // 00000001953C: 7EBC1742
	v_cvt_f32_f16_e32 v95, v67                                 // 000000019540: 7EBE1743
	v_mov_b32_e32 v48, 0x358637bd                              // 000000019544: 7E6002FF 358637BD
	v_max3_f32 v48, |v88|, |v89|, v48                          // 00000001954C: D1D30330 04C2B358
	v_max3_f32 v48, |v90|, |v91|, v48                          // 000000019554: D1D30330 04C2B75A
	v_max3_f32 v48, |v92|, |v93|, v48                          // 00000001955C: D1D30330 04C2BB5C
	v_max3_f32 v48, |v94|, |v95|, v48                          // 000000019564: D1D30330 04C2BF5E
	ds_write_b32 v8, v48 offset:16896                          // 00000001956C: D81A4200 00003008
	s_waitcnt lgkmcnt(0)                                       // 000000019574: BF8CC07F
	s_barrier                                                  // 000000019578: BF8A0000
	ds_read_b32 v64, v7 offset:16896                           // 00000001957C: D86C4200 40000007
	ds_read_b32 v65, v7 offset:16960                           // 000000019584: D86C4240 41000007
	ds_read_b32 v66, v7 offset:17024                           // 00000001958C: D86C4280 42000007
	ds_read_b32 v67, v7 offset:17088                           // 000000019594: D86C42C0 43000007
	ds_read_b32 v68, v7 offset:17152                           // 00000001959C: D86C4300 44000007
	ds_read_b32 v69, v7 offset:17216                           // 0000000195A4: D86C4340 45000007
	ds_read_b32 v70, v7 offset:17280                           // 0000000195AC: D86C4380 46000007
	ds_read_b32 v71, v7 offset:17344                           // 0000000195B4: D86C43C0 47000007
	ds_read_b32 v72, v7 offset:17408                           // 0000000195BC: D86C4400 48000007
	ds_read_b32 v73, v7 offset:17472                           // 0000000195C4: D86C4440 49000007
	ds_read_b32 v74, v7 offset:17536                           // 0000000195CC: D86C4480 4A000007
	ds_read_b32 v75, v7 offset:17600                           // 0000000195D4: D86C44C0 4B000007
	ds_read_b32 v76, v7 offset:17664                           // 0000000195DC: D86C4500 4C000007
	ds_read_b32 v77, v7 offset:17728                           // 0000000195E4: D86C4540 4D000007
	ds_read_b32 v78, v7 offset:17792                           // 0000000195EC: D86C4580 4E000007
	ds_read_b32 v79, v7 offset:17856                           // 0000000195F4: D86C45C0 4F000007
	s_waitcnt lgkmcnt(0)                                       // 0000000195FC: BF8CC07F
	v_max3_f32 v48, |v64|, |v65|, v48                          // 000000019600: D1D30330 04C28340
	v_max3_f32 v48, |v66|, |v67|, v48                          // 000000019608: D1D30330 04C28742
	v_max3_f32 v48, |v68|, |v69|, v48                          // 000000019610: D1D30330 04C28B44
	v_max3_f32 v48, |v70|, |v71|, v48                          // 000000019618: D1D30330 04C28F46
	v_max3_f32 v48, |v72|, |v73|, v48                          // 000000019620: D1D30330 04C29348
	v_max3_f32 v48, |v74|, |v75|, v48                          // 000000019628: D1D30330 04C2974A
	v_max3_f32 v48, |v76|, |v77|, v48                          // 000000019630: D1D30330 04C29B4C
	v_max3_f32 v48, |v78|, |v79|, v48                          // 000000019638: D1D30330 04C29F4E
	v_rcp_f32_e32 v48, v48                                     // 000000019640: 7E604530
	s_nop 1                                                    // 000000019644: BF800001
	v_mul_f32_e32 v48, 0x43e00000, v48                         // 000000019648: 0A6060FF 43E00000
	v_mul_f32_e32 v88, v48, v88                                // 000000019650: 0AB0B130
	v_mul_f32_e32 v89, v48, v89                                // 000000019654: 0AB2B330
	v_mul_f32_e32 v90, v48, v90                                // 000000019658: 0AB4B530
	v_mul_f32_e32 v91, v48, v91                                // 00000001965C: 0AB6B730
	v_mul_f32_e32 v92, v48, v92                                // 000000019660: 0AB8B930
	v_mul_f32_e32 v93, v48, v93                                // 000000019664: 0ABABB30
	v_mul_f32_e32 v94, v48, v94                                // 000000019668: 0ABCBD30
	v_mul_f32_e32 v95, v48, v95                                // 00000001966C: 0ABEBF30
	v_rcp_f32_e32 v19, v48                                     // 000000019670: 7E264530
	v_cvt_pk_fp8_f32 v88, v88, v89                             // 000000019674: D2A20058 0002B358
	v_cvt_pk_fp8_f32 v88, v90, v91 op_sel:[0,0,1]              // 00000001967C: D2A24058 0002B75A
	v_cvt_pk_fp8_f32 v89, v92, v93                             // 000000019684: D2A20059 0002BB5C
	v_cvt_pk_fp8_f32 v89, v94, v95 op_sel:[0,0,1]              // 00000001968C: D2A24059 0002BF5E
	ds_write_b32 v10, v88 offset:25088                         // 000000019694: D81A6200 0000580A
	ds_write_b32 v10, v89 offset:26112                         // 00000001969C: D81A6600 0000590A
	s_waitcnt lgkmcnt(0)                                       // 0000000196A4: BF8CC07F
	s_barrier                                                  // 0000000196A8: BF8A0000
	ds_read_b64 v[88:89], v9 offset:25088                      // 0000000196AC: D8EC6200 58000009
	ds_read_b64 v[90:91], v9 offset:25216                      // 0000000196B4: D8EC6280 5A000009
	ds_read_b64 v[92:93], v9 offset:26112                      // 0000000196BC: D8EC6600 5C000009
	ds_read_b64 v[94:95], v9 offset:26240                      // 0000000196C4: D8EC6680 5E000009
	v_mov_b32_e32 v216, 0                                      // 0000000196CC: 7FB00280
	v_mov_b32_e32 v217, 0                                      // 0000000196D0: 7FB20280
	v_mov_b32_e32 v218, 0                                      // 0000000196D4: 7FB40280
	v_mov_b32_e32 v219, 0                                      // 0000000196D8: 7FB60280
	v_mov_b32_e32 v220, 0                                      // 0000000196DC: 7FB80280
	v_mov_b32_e32 v221, 0                                      // 0000000196E0: 7FBA0280
	v_mov_b32_e32 v222, 0                                      // 0000000196E4: 7FBC0280
	v_mov_b32_e32 v223, 0                                      // 0000000196E8: 7FBE0280
	v_mov_b32_e32 v184, 0                                      // 0000000196EC: 7F700280
	v_mov_b32_e32 v185, 0                                      // 0000000196F0: 7F720280
	v_mov_b32_e32 v186, 0                                      // 0000000196F4: 7F740280
	v_mov_b32_e32 v187, 0                                      // 0000000196F8: 7F760280
	v_mov_b32_e32 v188, 0                                      // 0000000196FC: 7F780280
	v_mov_b32_e32 v189, 0                                      // 000000019700: 7F7A0280
	v_mov_b32_e32 v190, 0                                      // 000000019704: 7F7C0280
	v_mov_b32_e32 v191, 0                                      // 000000019708: 7F7E0280
	ds_read_b64 v[96:97], v4 offset:8448                       // 00000001970C: D8EC2100 60000004
	ds_read_b64 v[100:101], v4 offset:8576                     // 000000019714: D8EC2180 64000004
	s_waitcnt lgkmcnt(0)                                       // 00000001971C: BF8CC07F
	v_and_b32_e32 v64, 0xffff, v96                             // 000000019720: 2680C0FF 0000FFFF
	v_lshrrev_b32_e32 v65, 16, v96                             // 000000019728: 2082C090
	v_and_b32_e32 v66, 0xffff, v97                             // 00000001972C: 2684C2FF 0000FFFF
	v_lshrrev_b32_e32 v67, 16, v97                             // 000000019734: 2086C290
	v_cvt_f32_f16_e32 v96, v64                                 // 000000019738: 7EC01740
	v_cvt_f32_f16_e32 v97, v65                                 // 00000001973C: 7EC21741
	v_cvt_f32_f16_e32 v98, v66                                 // 000000019740: 7EC41742
	v_cvt_f32_f16_e32 v99, v67                                 // 000000019744: 7EC61743
	v_and_b32_e32 v64, 0xffff, v100                            // 000000019748: 2680C8FF 0000FFFF
	v_lshrrev_b32_e32 v65, 16, v100                            // 000000019750: 2082C890
	v_and_b32_e32 v66, 0xffff, v101                            // 000000019754: 2684CAFF 0000FFFF
	v_lshrrev_b32_e32 v67, 16, v101                            // 00000001975C: 2086CA90
	v_cvt_f32_f16_e32 v100, v64                                // 000000019760: 7EC81740
	v_cvt_f32_f16_e32 v101, v65                                // 000000019764: 7ECA1741
	v_cvt_f32_f16_e32 v102, v66                                // 000000019768: 7ECC1742
	v_cvt_f32_f16_e32 v103, v67                                // 00000001976C: 7ECE1743
	v_mov_b32_e32 v48, 0x358637bd                              // 000000019770: 7E6002FF 358637BD
	v_max3_f32 v48, |v96|, |v97|, v48                          // 000000019778: D1D30330 04C2C360
	v_max3_f32 v48, |v98|, |v99|, v48                          // 000000019780: D1D30330 04C2C762
	v_max3_f32 v48, |v100|, |v101|, v48                        // 000000019788: D1D30330 04C2CB64
	v_max3_f32 v48, |v102|, |v103|, v48                        // 000000019790: D1D30330 04C2CF66
	ds_write_b32 v8, v48 offset:16896                          // 000000019798: D81A4200 00003008
	s_waitcnt lgkmcnt(0)                                       // 0000000197A0: BF8CC07F
	s_barrier                                                  // 0000000197A4: BF8A0000
	ds_read_b32 v64, v7 offset:16896                           // 0000000197A8: D86C4200 40000007
	ds_read_b32 v65, v7 offset:16960                           // 0000000197B0: D86C4240 41000007
	ds_read_b32 v66, v7 offset:17024                           // 0000000197B8: D86C4280 42000007
	ds_read_b32 v67, v7 offset:17088                           // 0000000197C0: D86C42C0 43000007
	ds_read_b32 v68, v7 offset:17152                           // 0000000197C8: D86C4300 44000007
	ds_read_b32 v69, v7 offset:17216                           // 0000000197D0: D86C4340 45000007
	ds_read_b32 v70, v7 offset:17280                           // 0000000197D8: D86C4380 46000007
	ds_read_b32 v71, v7 offset:17344                           // 0000000197E0: D86C43C0 47000007
	ds_read_b32 v72, v7 offset:17408                           // 0000000197E8: D86C4400 48000007
	ds_read_b32 v73, v7 offset:17472                           // 0000000197F0: D86C4440 49000007
	ds_read_b32 v74, v7 offset:17536                           // 0000000197F8: D86C4480 4A000007
	ds_read_b32 v75, v7 offset:17600                           // 000000019800: D86C44C0 4B000007
	ds_read_b32 v76, v7 offset:17664                           // 000000019808: D86C4500 4C000007
	ds_read_b32 v77, v7 offset:17728                           // 000000019810: D86C4540 4D000007
	ds_read_b32 v78, v7 offset:17792                           // 000000019818: D86C4580 4E000007
	ds_read_b32 v79, v7 offset:17856                           // 000000019820: D86C45C0 4F000007
	s_waitcnt lgkmcnt(0)                                       // 000000019828: BF8CC07F
	v_max3_f32 v48, |v64|, |v65|, v48                          // 00000001982C: D1D30330 04C28340
	v_max3_f32 v48, |v66|, |v67|, v48                          // 000000019834: D1D30330 04C28742
	v_max3_f32 v48, |v68|, |v69|, v48                          // 00000001983C: D1D30330 04C28B44
	v_max3_f32 v48, |v70|, |v71|, v48                          // 000000019844: D1D30330 04C28F46
	v_max3_f32 v48, |v72|, |v73|, v48                          // 00000001984C: D1D30330 04C29348
	v_max3_f32 v48, |v74|, |v75|, v48                          // 000000019854: D1D30330 04C2974A
	v_max3_f32 v48, |v76|, |v77|, v48                          // 00000001985C: D1D30330 04C29B4C
	v_max3_f32 v48, |v78|, |v79|, v48                          // 000000019864: D1D30330 04C29F4E
	v_rcp_f32_e32 v48, v48                                     // 00000001986C: 7E604530
	s_nop 1                                                    // 000000019870: BF800001
	v_mul_f32_e32 v48, 0x43e00000, v48                         // 000000019874: 0A6060FF 43E00000
	v_mul_f32_e32 v96, v48, v96                                // 00000001987C: 0AC0C130
	v_mul_f32_e32 v97, v48, v97                                // 000000019880: 0AC2C330
	v_mul_f32_e32 v98, v48, v98                                // 000000019884: 0AC4C530
	v_mul_f32_e32 v99, v48, v99                                // 000000019888: 0AC6C730
	v_mul_f32_e32 v100, v48, v100                              // 00000001988C: 0AC8C930
	v_mul_f32_e32 v101, v48, v101                              // 000000019890: 0ACACB30
	v_mul_f32_e32 v102, v48, v102                              // 000000019894: 0ACCCD30
	v_mul_f32_e32 v103, v48, v103                              // 000000019898: 0ACECF30
	v_rcp_f32_e32 v20, v48                                     // 00000001989C: 7E284530
	v_cvt_pk_fp8_f32 v96, v96, v97                             // 0000000198A0: D2A20060 0002C360
	v_cvt_pk_fp8_f32 v96, v98, v99 op_sel:[0,0,1]              // 0000000198A8: D2A24060 0002C762
	v_cvt_pk_fp8_f32 v97, v100, v101                           // 0000000198B0: D2A20061 0002CB64
	v_cvt_pk_fp8_f32 v97, v102, v103 op_sel:[0,0,1]            // 0000000198B8: D2A24061 0002CF66
	ds_write_b32 v10, v96 offset:25088                         // 0000000198C0: D81A6200 0000600A
	ds_write_b32 v10, v97 offset:26112                         // 0000000198C8: D81A6600 0000610A
	s_waitcnt lgkmcnt(0)                                       // 0000000198D0: BF8CC07F
	s_barrier                                                  // 0000000198D4: BF8A0000
	ds_read_b64 v[96:97], v9 offset:25088                      // 0000000198D8: D8EC6200 60000009
	ds_read_b64 v[98:99], v9 offset:25216                      // 0000000198E0: D8EC6280 62000009
	ds_read_b64 v[100:101], v9 offset:26112                    // 0000000198E8: D8EC6600 64000009
	ds_read_b64 v[102:103], v9 offset:26240                    // 0000000198F0: D8EC6680 66000009
	v_mov_b32_e32 v224, 0                                      // 0000000198F8: 7FC00280
	v_mov_b32_e32 v225, 0                                      // 0000000198FC: 7FC20280
	v_mov_b32_e32 v226, 0                                      // 000000019900: 7FC40280
	v_mov_b32_e32 v227, 0                                      // 000000019904: 7FC60280
	v_mov_b32_e32 v228, 0                                      // 000000019908: 7FC80280
	v_mov_b32_e32 v229, 0                                      // 00000001990C: 7FCA0280
	v_mov_b32_e32 v230, 0                                      // 000000019910: 7FCC0280
	v_mov_b32_e32 v231, 0                                      // 000000019914: 7FCE0280
	v_mov_b32_e32 v192, 0                                      // 000000019918: 7F800280
	v_mov_b32_e32 v193, 0                                      // 00000001991C: 7F820280
	v_mov_b32_e32 v194, 0                                      // 000000019920: 7F840280
	v_mov_b32_e32 v195, 0                                      // 000000019924: 7F860280
	v_mov_b32_e32 v196, 0                                      // 000000019928: 7F880280
	v_mov_b32_e32 v197, 0                                      // 00000001992C: 7F8A0280
	v_mov_b32_e32 v198, 0                                      // 000000019930: 7F8C0280
	v_mov_b32_e32 v199, 0                                      // 000000019934: 7F8E0280
	ds_read_b64 v[104:105], v4 offset:12672                    // 000000019938: D8EC3180 68000004
	ds_read_b64 v[108:109], v4 offset:12800                    // 000000019940: D8EC3200 6C000004
	s_waitcnt lgkmcnt(0)                                       // 000000019948: BF8CC07F
	v_and_b32_e32 v64, 0xffff, v104                            // 00000001994C: 2680D0FF 0000FFFF
	v_lshrrev_b32_e32 v65, 16, v104                            // 000000019954: 2082D090
	v_and_b32_e32 v66, 0xffff, v105                            // 000000019958: 2684D2FF 0000FFFF
	v_lshrrev_b32_e32 v67, 16, v105                            // 000000019960: 2086D290
	v_cvt_f32_f16_e32 v104, v64                                // 000000019964: 7ED01740
	v_cvt_f32_f16_e32 v105, v65                                // 000000019968: 7ED21741
	v_cvt_f32_f16_e32 v106, v66                                // 00000001996C: 7ED41742
	v_cvt_f32_f16_e32 v107, v67                                // 000000019970: 7ED61743
	v_and_b32_e32 v64, 0xffff, v108                            // 000000019974: 2680D8FF 0000FFFF
	v_lshrrev_b32_e32 v65, 16, v108                            // 00000001997C: 2082D890
	v_and_b32_e32 v66, 0xffff, v109                            // 000000019980: 2684DAFF 0000FFFF
	v_lshrrev_b32_e32 v67, 16, v109                            // 000000019988: 2086DA90
	v_cvt_f32_f16_e32 v108, v64                                // 00000001998C: 7ED81740
	v_cvt_f32_f16_e32 v109, v65                                // 000000019990: 7EDA1741
	v_cvt_f32_f16_e32 v110, v66                                // 000000019994: 7EDC1742
	v_cvt_f32_f16_e32 v111, v67                                // 000000019998: 7EDE1743
	v_mov_b32_e32 v48, 0x358637bd                              // 00000001999C: 7E6002FF 358637BD
	v_max3_f32 v48, |v104|, |v105|, v48                        // 0000000199A4: D1D30330 04C2D368
	v_max3_f32 v48, |v106|, |v107|, v48                        // 0000000199AC: D1D30330 04C2D76A
	v_max3_f32 v48, |v108|, |v109|, v48                        // 0000000199B4: D1D30330 04C2DB6C
	v_max3_f32 v48, |v110|, |v111|, v48                        // 0000000199BC: D1D30330 04C2DF6E
	ds_write_b32 v8, v48 offset:16896                          // 0000000199C4: D81A4200 00003008
	s_waitcnt lgkmcnt(0)                                       // 0000000199CC: BF8CC07F
	s_barrier                                                  // 0000000199D0: BF8A0000
	ds_read_b32 v64, v7 offset:16896                           // 0000000199D4: D86C4200 40000007
	ds_read_b32 v65, v7 offset:16960                           // 0000000199DC: D86C4240 41000007
	ds_read_b32 v66, v7 offset:17024                           // 0000000199E4: D86C4280 42000007
	ds_read_b32 v67, v7 offset:17088                           // 0000000199EC: D86C42C0 43000007
	ds_read_b32 v68, v7 offset:17152                           // 0000000199F4: D86C4300 44000007
	ds_read_b32 v69, v7 offset:17216                           // 0000000199FC: D86C4340 45000007
	ds_read_b32 v70, v7 offset:17280                           // 000000019A04: D86C4380 46000007
	ds_read_b32 v71, v7 offset:17344                           // 000000019A0C: D86C43C0 47000007
	ds_read_b32 v72, v7 offset:17408                           // 000000019A14: D86C4400 48000007
	ds_read_b32 v73, v7 offset:17472                           // 000000019A1C: D86C4440 49000007
	ds_read_b32 v74, v7 offset:17536                           // 000000019A24: D86C4480 4A000007
	ds_read_b32 v75, v7 offset:17600                           // 000000019A2C: D86C44C0 4B000007
	ds_read_b32 v76, v7 offset:17664                           // 000000019A34: D86C4500 4C000007
	ds_read_b32 v77, v7 offset:17728                           // 000000019A3C: D86C4540 4D000007
	ds_read_b32 v78, v7 offset:17792                           // 000000019A44: D86C4580 4E000007
	ds_read_b32 v79, v7 offset:17856                           // 000000019A4C: D86C45C0 4F000007
	s_waitcnt lgkmcnt(0)                                       // 000000019A54: BF8CC07F
	v_max3_f32 v48, |v64|, |v65|, v48                          // 000000019A58: D1D30330 04C28340
	v_max3_f32 v48, |v66|, |v67|, v48                          // 000000019A60: D1D30330 04C28742
	v_max3_f32 v48, |v68|, |v69|, v48                          // 000000019A68: D1D30330 04C28B44
	v_max3_f32 v48, |v70|, |v71|, v48                          // 000000019A70: D1D30330 04C28F46
	v_max3_f32 v48, |v72|, |v73|, v48                          // 000000019A78: D1D30330 04C29348
	v_max3_f32 v48, |v74|, |v75|, v48                          // 000000019A80: D1D30330 04C2974A
	v_max3_f32 v48, |v76|, |v77|, v48                          // 000000019A88: D1D30330 04C29B4C
	v_max3_f32 v48, |v78|, |v79|, v48                          // 000000019A90: D1D30330 04C29F4E
	v_rcp_f32_e32 v48, v48                                     // 000000019A98: 7E604530
	s_nop 1                                                    // 000000019A9C: BF800001
	v_mul_f32_e32 v48, 0x43e00000, v48                         // 000000019AA0: 0A6060FF 43E00000
	v_mul_f32_e32 v104, v48, v104                              // 000000019AA8: 0AD0D130
	v_mul_f32_e32 v105, v48, v105                              // 000000019AAC: 0AD2D330
	v_mul_f32_e32 v106, v48, v106                              // 000000019AB0: 0AD4D530
	v_mul_f32_e32 v107, v48, v107                              // 000000019AB4: 0AD6D730
	v_mul_f32_e32 v108, v48, v108                              // 000000019AB8: 0AD8D930
	v_mul_f32_e32 v109, v48, v109                              // 000000019ABC: 0ADADB30
	v_mul_f32_e32 v110, v48, v110                              // 000000019AC0: 0ADCDD30
	v_mul_f32_e32 v111, v48, v111                              // 000000019AC4: 0ADEDF30
	v_rcp_f32_e32 v21, v48                                     // 000000019AC8: 7E2A4530
	v_cvt_pk_fp8_f32 v104, v104, v105                          // 000000019ACC: D2A20068 0002D368
	v_cvt_pk_fp8_f32 v104, v106, v107 op_sel:[0,0,1]           // 000000019AD4: D2A24068 0002D76A
	v_cvt_pk_fp8_f32 v105, v108, v109                          // 000000019ADC: D2A20069 0002DB6C
	v_cvt_pk_fp8_f32 v105, v110, v111 op_sel:[0,0,1]           // 000000019AE4: D2A24069 0002DF6E
	ds_write_b32 v10, v104 offset:25088                        // 000000019AEC: D81A6200 0000680A
	ds_write_b32 v10, v105 offset:26112                        // 000000019AF4: D81A6600 0000690A
	s_waitcnt lgkmcnt(0)                                       // 000000019AFC: BF8CC07F
	s_barrier                                                  // 000000019B00: BF8A0000
	ds_read_b64 v[104:105], v9 offset:25088                    // 000000019B04: D8EC6200 68000009
	ds_read_b64 v[106:107], v9 offset:25216                    // 000000019B0C: D8EC6280 6A000009
	ds_read_b64 v[108:109], v9 offset:26112                    // 000000019B14: D8EC6600 6C000009
	ds_read_b64 v[110:111], v9 offset:26240                    // 000000019B1C: D8EC6680 6E000009
	v_mov_b32_e32 v232, 0                                      // 000000019B24: 7FD00280
	v_mov_b32_e32 v233, 0                                      // 000000019B28: 7FD20280
	v_mov_b32_e32 v234, 0                                      // 000000019B2C: 7FD40280
	v_mov_b32_e32 v235, 0                                      // 000000019B30: 7FD60280
	v_mov_b32_e32 v236, 0                                      // 000000019B34: 7FD80280
	v_mov_b32_e32 v237, 0                                      // 000000019B38: 7FDA0280
	v_mov_b32_e32 v238, 0                                      // 000000019B3C: 7FDC0280
	v_mov_b32_e32 v239, 0                                      // 000000019B40: 7FDE0280
	v_mov_b32_e32 v200, 0                                      // 000000019B44: 7F900280
	v_mov_b32_e32 v201, 0                                      // 000000019B48: 7F920280
	v_mov_b32_e32 v202, 0                                      // 000000019B4C: 7F940280
	v_mov_b32_e32 v203, 0                                      // 000000019B50: 7F960280
	v_mov_b32_e32 v204, 0                                      // 000000019B54: 7F980280
	v_mov_b32_e32 v205, 0                                      // 000000019B58: 7F9A0280
	v_mov_b32_e32 v206, 0                                      // 000000019B5C: 7F9C0280
	v_mov_b32_e32 v207, 0                                      // 000000019B60: 7F9E0280
	s_waitcnt vmcnt(8) lgkmcnt(0)                              // 000000019B64: BF8C0078
	s_barrier                                                  // 000000019B68: BF8A0000
	s_cmp_lt_u32 s73, 16                                       // 000000019B6C: BF0A9049
	s_cbranch_scc1 label_7F1C                                  // 000000019B70: BF8520BF
	s_cmp_lt_i32 s7, 2                                         // 000000019B74: BF048207
	s_cbranch_scc0 label_6EBF                                  // 000000019B78: BF841060

0000000000019b7c <label_5E5F>:
	s_waitcnt vmcnt(8) lgkmcnt(0)                              // 000000019B7C: BF8C0078
	v_mul_u32_u24_dpp v64, v17, v54 row_newbcast:0 row_mask:0xf bank_mask:0xf// 000000019B80: 10806CFA FF015011
	v_mul_u32_u24_dpp v65, v17, v54 row_newbcast:4 row_mask:0xf bank_mask:0xf// 000000019B88: 10826CFA FF015411
	v_mul_u32_u24_dpp v66, v17, v54 row_newbcast:8 row_mask:0xf bank_mask:0xf// 000000019B90: 10846CFA FF015811
	v_mul_u32_u24_dpp v67, v17, v54 row_newbcast:12 row_mask:0xf bank_mask:0xf// 000000019B98: 10866CFA FF015C11
	v_add_u32_e32 v26, v64, v5                                 // 000000019BA0: 68340B40
	v_add_u32_e32 v27, v65, v5                                 // 000000019BA4: 68360B41
	v_add_u32_e32 v28, v66, v5                                 // 000000019BA8: 68380B42
	v_add_u32_e32 v29, v67, v5                                 // 000000019BAC: 683A0B43
	v_mul_u32_u24_dpp v64, v17, v63 quad_perm:[0,0,0,0] row_mask:0xf bank_mask:0xf// 000000019BB0: 10807EFA FF000011
	v_add_u32_e32 v3, v64, v59                                 // 000000019BB8: 68067740
	v_mul_u32_u24_dpp v64, v17, v63 quad_perm:[0,0,0,0] row_mask:0xf bank_mask:0xf// 000000019BBC: 10807EFA FF000011
	v_add_u32_e32 v56, v64, v60                                // 000000019BC4: 68707940
	v_mfma_f32_16x16x32_fp8_fp8 v[112:115], a[0:1], v[80:81], 0// 000000019BC8: D3F30070 0A02A100
	v_mfma_f32_16x16x32_fp8_fp8 v[112:115], a[2:3], v[82:83], v[112:115]// 000000019BD0: D3F30070 0DC2A502
	buffer_load_dwordx4 a[32:35], v26, s[16:19], 0 offen       // 000000019BD8: E05C1000 8084201A
	v_mfma_f32_16x16x32_fp8_fp8 v[112:115], a[4:5], v[84:85], v[112:115]// 000000019BE0: D3F30070 0DC2A904
	v_mfma_f32_16x16x32_fp8_fp8 v[112:115], a[6:7], v[86:87], v[112:115]// 000000019BE8: D3F30070 0DC2AD06
	buffer_load_dword v16, v1, s[24:27], 0 offen               // 000000019BF0: E0501000 80061001
	v_mfma_f32_16x16x32_fp8_fp8 v[116:119], a[8:9], v[80:81], 0// 000000019BF8: D3F30074 0A02A108
	v_mfma_f32_16x16x32_fp8_fp8 v[116:119], a[10:11], v[82:83], v[116:119]// 000000019C00: D3F30074 0DD2A50A
	buffer_load_dwordx4 a[36:39], v26, s[16:19], 0 offen offset:1024// 000000019C08: E05C1400 8084241A
	v_mfma_f32_16x16x32_fp8_fp8 v[116:119], a[12:13], v[84:85], v[116:119]// 000000019C10: D3F30074 0DD2A90C
	v_mfma_f32_16x16x32_fp8_fp8 v[116:119], a[14:15], v[86:87], v[116:119]// 000000019C18: D3F30074 0DD2AD0E
	v_mfma_f32_16x16x32_fp8_fp8 v[120:123], a[16:17], v[80:81], 0// 000000019C20: D3F30078 0A02A110
	v_mfma_f32_16x16x32_fp8_fp8 v[120:123], a[18:19], v[82:83], v[120:123]// 000000019C28: D3F30078 0DE2A512
	buffer_load_dwordx4 a[40:43], v27, s[16:19], 0 offen       // 000000019C30: E05C1000 8084281B
	v_mfma_f32_16x16x32_fp8_fp8 v[120:123], a[20:21], v[84:85], v[120:123]// 000000019C38: D3F30078 0DE2A914
	v_mfma_f32_16x16x32_fp8_fp8 v[120:123], a[22:23], v[86:87], v[120:123]// 000000019C40: D3F30078 0DE2AD16
	v_mfma_f32_16x16x32_fp8_fp8 v[124:127], a[24:25], v[80:81], 0// 000000019C48: D3F3007C 0A02A118
	v_mfma_f32_16x16x32_fp8_fp8 v[124:127], a[26:27], v[82:83], v[124:127]// 000000019C50: D3F3007C 0DF2A51A
	buffer_load_dwordx4 a[44:47], v27, s[16:19], 0 offen offset:1024// 000000019C58: E05C1400 80842C1B
	v_mfma_f32_16x16x32_fp8_fp8 v[124:127], a[28:29], v[84:85], v[124:127]// 000000019C60: D3F3007C 0DF2A91C
	v_mfma_f32_16x16x32_fp8_fp8 v[124:127], a[30:31], v[86:87], v[124:127]// 000000019C68: D3F3007C 0DF2AD1E
	v_mfma_f32_16x16x32_fp8_fp8 v[128:131], a[0:1], v[88:89], 0// 000000019C70: D3F30080 0A02B100
	v_mfma_f32_16x16x32_fp8_fp8 v[128:131], a[2:3], v[90:91], v[128:131]// 000000019C78: D3F30080 0E02B502
	v_mfma_f32_16x16x32_fp8_fp8 v[128:131], a[4:5], v[92:93], v[128:131]// 000000019C80: D3F30080 0E02B904
	v_mfma_f32_16x16x32_fp8_fp8 v[128:131], a[6:7], v[94:95], v[128:131]// 000000019C88: D3F30080 0E02BD06
	v_mfma_f32_16x16x32_fp8_fp8 v[132:135], a[8:9], v[88:89], 0// 000000019C90: D3F30084 0A02B108
	v_mfma_f32_16x16x32_fp8_fp8 v[132:135], a[10:11], v[90:91], v[132:135]// 000000019C98: D3F30084 0E12B50A
	v_mfma_f32_16x16x32_fp8_fp8 v[132:135], a[12:13], v[92:93], v[132:135]// 000000019CA0: D3F30084 0E12B90C
	v_mfma_f32_16x16x32_fp8_fp8 v[132:135], a[14:15], v[94:95], v[132:135]// 000000019CA8: D3F30084 0E12BD0E
	v_mfma_f32_16x16x32_fp8_fp8 v[136:139], a[16:17], v[88:89], 0// 000000019CB0: D3F30088 0A02B110
	v_mfma_f32_16x16x32_fp8_fp8 v[136:139], a[18:19], v[90:91], v[136:139]// 000000019CB8: D3F30088 0E22B512
	v_mfma_f32_16x16x32_fp8_fp8 v[136:139], a[20:21], v[92:93], v[136:139]// 000000019CC0: D3F30088 0E22B914
	v_mfma_f32_16x16x32_fp8_fp8 v[136:139], a[22:23], v[94:95], v[136:139]// 000000019CC8: D3F30088 0E22BD16
	v_mfma_f32_16x16x32_fp8_fp8 v[140:143], a[24:25], v[88:89], 0// 000000019CD0: D3F3008C 0A02B118
	v_mfma_f32_16x16x32_fp8_fp8 v[140:143], a[26:27], v[90:91], v[140:143]// 000000019CD8: D3F3008C 0E32B51A
	v_mfma_f32_16x16x32_fp8_fp8 v[140:143], a[28:29], v[92:93], v[140:143]// 000000019CE0: D3F3008C 0E32B91C
	v_mfma_f32_16x16x32_fp8_fp8 v[140:143], a[30:31], v[94:95], v[140:143]// 000000019CE8: D3F3008C 0E32BD1E
	v_mfma_f32_16x16x32_fp8_fp8 v[144:147], a[0:1], v[96:97], 0// 000000019CF0: D3F30090 0A02C100
	v_mfma_f32_16x16x32_fp8_fp8 v[144:147], a[2:3], v[98:99], v[144:147]// 000000019CF8: D3F30090 0E42C502
	v_mfma_f32_16x16x32_fp8_fp8 v[144:147], a[4:5], v[100:101], v[144:147]// 000000019D00: D3F30090 0E42C904
	v_mfma_f32_16x16x32_fp8_fp8 v[144:147], a[6:7], v[102:103], v[144:147]// 000000019D08: D3F30090 0E42CD06
	v_mfma_f32_16x16x32_fp8_fp8 v[148:151], a[8:9], v[96:97], 0// 000000019D10: D3F30094 0A02C108
	v_mfma_f32_16x16x32_fp8_fp8 v[148:151], a[10:11], v[98:99], v[148:151]// 000000019D18: D3F30094 0E52C50A
	v_mfma_f32_16x16x32_fp8_fp8 v[148:151], a[12:13], v[100:101], v[148:151]// 000000019D20: D3F30094 0E52C90C
	v_mfma_f32_16x16x32_fp8_fp8 v[148:151], a[14:15], v[102:103], v[148:151]// 000000019D28: D3F30094 0E52CD0E
	v_mfma_f32_16x16x32_fp8_fp8 v[152:155], a[16:17], v[96:97], 0// 000000019D30: D3F30098 0A02C110
	v_mfma_f32_16x16x32_fp8_fp8 v[152:155], a[18:19], v[98:99], v[152:155]// 000000019D38: D3F30098 0E62C512
	v_mfma_f32_16x16x32_fp8_fp8 v[152:155], a[20:21], v[100:101], v[152:155]// 000000019D40: D3F30098 0E62C914
	v_mfma_f32_16x16x32_fp8_fp8 v[152:155], a[22:23], v[102:103], v[152:155]// 000000019D48: D3F30098 0E62CD16
	v_mfma_f32_16x16x32_fp8_fp8 v[156:159], a[24:25], v[96:97], 0// 000000019D50: D3F3009C 0A02C118
	v_mfma_f32_16x16x32_fp8_fp8 v[156:159], a[26:27], v[98:99], v[156:159]// 000000019D58: D3F3009C 0E72C51A
	v_mfma_f32_16x16x32_fp8_fp8 v[156:159], a[28:29], v[100:101], v[156:159]// 000000019D60: D3F3009C 0E72C91C
	v_mfma_f32_16x16x32_fp8_fp8 v[156:159], a[30:31], v[102:103], v[156:159]// 000000019D68: D3F3009C 0E72CD1E
	v_mfma_f32_16x16x32_fp8_fp8 v[160:163], a[0:1], v[104:105], 0// 000000019D70: D3F300A0 0A02D100
	v_mfma_f32_16x16x32_fp8_fp8 v[160:163], a[2:3], v[106:107], v[160:163]// 000000019D78: D3F300A0 0E82D502
	v_mfma_f32_16x16x32_fp8_fp8 v[160:163], a[4:5], v[108:109], v[160:163]// 000000019D80: D3F300A0 0E82D904
	v_mfma_f32_16x16x32_fp8_fp8 v[160:163], a[6:7], v[110:111], v[160:163]// 000000019D88: D3F300A0 0E82DD06
	v_mfma_f32_16x16x32_fp8_fp8 v[164:167], a[8:9], v[104:105], 0// 000000019D90: D3F300A4 0A02D108
	v_mfma_f32_16x16x32_fp8_fp8 v[164:167], a[10:11], v[106:107], v[164:167]// 000000019D98: D3F300A4 0E92D50A
	v_mfma_f32_16x16x32_fp8_fp8 v[164:167], a[12:13], v[108:109], v[164:167]// 000000019DA0: D3F300A4 0E92D90C
	v_mfma_f32_16x16x32_fp8_fp8 v[164:167], a[14:15], v[110:111], v[164:167]// 000000019DA8: D3F300A4 0E92DD0E
	v_mfma_f32_16x16x32_fp8_fp8 v[168:171], a[16:17], v[104:105], 0// 000000019DB0: D3F300A8 0A02D110
	v_mfma_f32_16x16x32_fp8_fp8 v[168:171], a[18:19], v[106:107], v[168:171]// 000000019DB8: D3F300A8 0EA2D512
	v_mfma_f32_16x16x32_fp8_fp8 v[168:171], a[20:21], v[108:109], v[168:171]// 000000019DC0: D3F300A8 0EA2D914
	v_mfma_f32_16x16x32_fp8_fp8 v[168:171], a[22:23], v[110:111], v[168:171]// 000000019DC8: D3F300A8 0EA2DD16
	v_mfma_f32_16x16x32_fp8_fp8 v[172:175], a[24:25], v[104:105], 0// 000000019DD0: D3F300AC 0A02D118
	v_mfma_f32_16x16x32_fp8_fp8 v[172:175], a[26:27], v[106:107], v[172:175]// 000000019DD8: D3F300AC 0EB2D51A
	v_mfma_f32_16x16x32_fp8_fp8 v[172:175], a[28:29], v[108:109], v[172:175]// 000000019DE0: D3F300AC 0EB2D91C
	v_mfma_f32_16x16x32_fp8_fp8 v[172:175], a[30:31], v[110:111], v[172:175]// 000000019DE8: D3F300AC 0EB2DD1E
	buffer_load_dword v43, v3, s[32:35], 0 offen               // 000000019DF0: E0501000 80082B03
	v_mov_b32_dpp v64, v42 row_shr:4 row_mask:0xf bank_mask:0xf// 000000019DF8: 7E8002FA FF01142A
	v_mov_b32_dpp v65, v42 row_shl:4 row_mask:0xf bank_mask:0xf// 000000019E00: 7E8202FA FF01042A
	v_cndmask_b32_e64 v248, v42, v64, s[44:45]                 // 000000019E08: D10000F8 00B2812A
	v_cndmask_b32_e64 v249, v65, v42, s[44:45]                 // 000000019E10: D10000F9 00B25541
	v_mov_b32_dpp v64, v248 row_shr:8 row_mask:0xf bank_mask:0xf// 000000019E18: 7E8002FA FF0118F8
	v_mov_b32_dpp v65, v248 row_shl:8 row_mask:0xf bank_mask:0xf// 000000019E20: 7E8202FA FF0108F8
	v_mov_b32_dpp v66, v249 row_shr:8 row_mask:0xf bank_mask:0xf// 000000019E28: 7E8402FA FF0118F9
	v_mov_b32_dpp v67, v249 row_shl:8 row_mask:0xf bank_mask:0xf// 000000019E30: 7E8602FA FF0108F9
	v_mov_b32_e32 v68, v248                                    // 000000019E38: 7E8803F8
	v_mov_b32_e32 v69, v249                                    // 000000019E3C: 7E8A03F9
	v_cndmask_b32_e64 v248, v68, v64, s[42:43]                 // 000000019E40: D10000F8 00AA8144
	v_cndmask_b32_e64 v250, v68, v65, s[78:79]                 // 000000019E48: D10000FA 013A8344
	v_cndmask_b32_e64 v249, v69, v66, s[42:43]                 // 000000019E50: D10000F9 00AA8545
	v_cndmask_b32_e64 v251, v69, v67, s[78:79]                 // 000000019E58: D10000FB 013A8745
	v_mov_b32_dpp v64, v57 row_shr:4 row_mask:0xf bank_mask:0xf// 000000019E60: 7E8002FA FF011439
	v_mov_b32_dpp v65, v57 row_shl:4 row_mask:0xf bank_mask:0xf// 000000019E68: 7E8202FA FF010439
	v_cndmask_b32_e64 v252, v57, v64, s[44:45]                 // 000000019E70: D10000FC 00B28139
	v_cndmask_b32_e64 v253, v65, v57, s[44:45]                 // 000000019E78: D10000FD 00B27341
	v_mov_b32_dpp v64, v252 row_shr:8 row_mask:0xf bank_mask:0xf// 000000019E80: 7E8002FA FF0118FC
	v_mov_b32_dpp v65, v252 row_shl:8 row_mask:0xf bank_mask:0xf// 000000019E88: 7E8202FA FF0108FC
	v_mov_b32_dpp v66, v253 row_shr:8 row_mask:0xf bank_mask:0xf// 000000019E90: 7E8402FA FF0118FD
	v_mov_b32_dpp v67, v253 row_shl:8 row_mask:0xf bank_mask:0xf// 000000019E98: 7E8602FA FF0108FD
	v_mov_b32_e32 v68, v252                                    // 000000019EA0: 7E8803FC
	v_mov_b32_e32 v69, v253                                    // 000000019EA4: 7E8A03FD
	v_cndmask_b32_e64 v252, v68, v64, s[42:43]                 // 000000019EA8: D10000FC 00AA8144
	v_cndmask_b32_e64 v254, v68, v65, s[78:79]                 // 000000019EB0: D10000FE 013A8344
	v_cndmask_b32_e64 v253, v69, v66, s[42:43]                 // 000000019EB8: D10000FD 00AA8545
	v_cndmask_b32_e64 v255, v69, v67, s[78:79]                 // 000000019EC0: D10000FF 013A8745
	buffer_load_dword v58, v56, s[36:39], 0 offen              // 000000019EC8: E0501000 80093A38
	v_mul_f32_e32 v112, v18, v112                              // 000000019ED0: 0AE0E112
	v_mul_f32_e32 v113, v18, v113                              // 000000019ED4: 0AE2E312
	v_mul_f32_e32 v114, v18, v114                              // 000000019ED8: 0AE4E512
	v_mul_f32_e32 v115, v18, v115                              // 000000019EDC: 0AE6E712
	v_mul_f32_e32 v116, v18, v116                              // 000000019EE0: 0AE8E912
	v_mul_f32_e32 v117, v18, v117                              // 000000019EE4: 0AEAEB12
	v_mul_f32_e32 v118, v18, v118                              // 000000019EE8: 0AECED12
	v_mul_f32_e32 v119, v18, v119                              // 000000019EEC: 0AEEEF12
	v_mul_f32_e32 v120, v18, v120                              // 000000019EF0: 0AF0F112
	v_mul_f32_e32 v121, v18, v121                              // 000000019EF4: 0AF2F312
	v_mul_f32_e32 v122, v18, v122                              // 000000019EF8: 0AF4F512
	v_mul_f32_e32 v123, v18, v123                              // 000000019EFC: 0AF6F712
	v_mul_f32_e32 v124, v18, v124                              // 000000019F00: 0AF8F912
	v_mul_f32_e32 v125, v18, v125                              // 000000019F04: 0AFAFB12
	v_mul_f32_e32 v126, v18, v126                              // 000000019F08: 0AFCFD12
	v_mul_f32_e32 v127, v18, v127                              // 000000019F0C: 0AFEFF12
	buffer_load_dwordx4 a[48:51], v28, s[16:19], 0 offen       // 000000019F10: E05C1000 8084301C
	v_mul_f32_dpp v112, v248, v112 quad_perm:[0,0,0,0] row_mask:0xf bank_mask:0xf// 000000019F18: 0AE0E0FA FF0000F8
	v_mul_f32_dpp v113, v248, v113 quad_perm:[1,1,1,1] row_mask:0xf bank_mask:0xf// 000000019F20: 0AE2E2FA FF0055F8
	v_mul_f32_dpp v114, v248, v114 quad_perm:[2,2,2,2] row_mask:0xf bank_mask:0xf// 000000019F28: 0AE4E4FA FF00AAF8
	v_mul_f32_dpp v115, v248, v115 quad_perm:[3,3,3,3] row_mask:0xf bank_mask:0xf// 000000019F30: 0AE6E6FA FF00FFF8
	v_mul_f32_dpp v116, v249, v116 quad_perm:[0,0,0,0] row_mask:0xf bank_mask:0xf// 000000019F38: 0AE8E8FA FF0000F9
	v_mul_f32_dpp v117, v249, v117 quad_perm:[1,1,1,1] row_mask:0xf bank_mask:0xf// 000000019F40: 0AEAEAFA FF0055F9
	v_mul_f32_dpp v118, v249, v118 quad_perm:[2,2,2,2] row_mask:0xf bank_mask:0xf// 000000019F48: 0AECECFA FF00AAF9
	v_mul_f32_dpp v119, v249, v119 quad_perm:[3,3,3,3] row_mask:0xf bank_mask:0xf// 000000019F50: 0AEEEEFA FF00FFF9
	v_mul_f32_dpp v120, v250, v120 quad_perm:[0,0,0,0] row_mask:0xf bank_mask:0xf// 000000019F58: 0AF0F0FA FF0000FA
	v_mul_f32_dpp v121, v250, v121 quad_perm:[1,1,1,1] row_mask:0xf bank_mask:0xf// 000000019F60: 0AF2F2FA FF0055FA
	v_mul_f32_dpp v122, v250, v122 quad_perm:[2,2,2,2] row_mask:0xf bank_mask:0xf// 000000019F68: 0AF4F4FA FF00AAFA
	v_mul_f32_dpp v123, v250, v123 quad_perm:[3,3,3,3] row_mask:0xf bank_mask:0xf// 000000019F70: 0AF6F6FA FF00FFFA
	v_mul_f32_dpp v124, v251, v124 quad_perm:[0,0,0,0] row_mask:0xf bank_mask:0xf// 000000019F78: 0AF8F8FA FF0000FB
	v_mul_f32_dpp v125, v251, v125 quad_perm:[1,1,1,1] row_mask:0xf bank_mask:0xf// 000000019F80: 0AFAFAFA FF0055FB
	v_mul_f32_dpp v126, v251, v126 quad_perm:[2,2,2,2] row_mask:0xf bank_mask:0xf// 000000019F88: 0AFCFCFA FF00AAFB
	v_mul_f32_dpp v127, v251, v127 quad_perm:[3,3,3,3] row_mask:0xf bank_mask:0xf// 000000019F90: 0AFEFEFA FF00FFFB
	buffer_load_dwordx4 a[52:55], v28, s[16:19], 0 offen offset:1024// 000000019F98: E05C1400 8084341C
	v_mov_b32_e32 v48, v112                                    // 000000019FA0: 7E600370
	v_max3_f32 v48, v112, v113, v48                            // 000000019FA4: D1D30030 04C2E370
	v_max3_f32 v48, v114, v115, v48                            // 000000019FAC: D1D30030 04C2E772
	v_max3_f32 v48, v116, v117, v48                            // 000000019FB4: D1D30030 04C2EB74
	v_max3_f32 v48, v118, v119, v48                            // 000000019FBC: D1D30030 04C2EF76
	v_max3_f32 v48, v120, v121, v48                            // 000000019FC4: D1D30030 04C2F378
	v_max3_f32 v48, v122, v123, v48                            // 000000019FCC: D1D30030 04C2F77A
	v_max3_f32 v48, v124, v125, v48                            // 000000019FD4: D1D30030 04C2FB7C
	v_max3_f32 v48, v126, v127, v48                            // 000000019FDC: D1D30030 04C2FF7E
	ds_write_b32 v8, v48 offset:16896                          // 000000019FE4: D81A4200 00003008
	buffer_load_dwordx4 a[56:59], v29, s[16:19], 0 offen       // 000000019FEC: E05C1000 8084381D
	v_mul_u32_u24_dpp v64, v17, v54 row_newbcast:1 row_mask:0xf bank_mask:0xf// 000000019FF4: 10806CFA FF015111
	v_mul_u32_u24_dpp v65, v17, v54 row_newbcast:5 row_mask:0xf bank_mask:0xf// 000000019FFC: 10826CFA FF015511
	v_mul_u32_u24_dpp v66, v17, v54 row_newbcast:9 row_mask:0xf bank_mask:0xf// 00000001A004: 10846CFA FF015911
	v_mul_u32_u24_dpp v67, v17, v54 row_newbcast:13 row_mask:0xf bank_mask:0xf// 00000001A00C: 10866CFA FF015D11
	v_add_u32_e32 v34, v64, v6                                 // 00000001A014: 68440D40
	v_add_u32_e32 v35, v65, v6                                 // 00000001A018: 68460D41
	v_add_u32_e32 v36, v66, v6                                 // 00000001A01C: 68480D42
	v_add_u32_e32 v37, v67, v6                                 // 00000001A020: 684A0D43
	v_mul_f32_e32 v208, v49, v208                              // 00000001A024: 0BA1A131
	v_mul_f32_e32 v209, v49, v209                              // 00000001A028: 0BA3A331
	v_mul_f32_e32 v210, v49, v210                              // 00000001A02C: 0BA5A531
	v_mul_f32_e32 v211, v49, v211                              // 00000001A030: 0BA7A731
	v_mul_f32_e32 v212, v49, v212                              // 00000001A034: 0BA9A931
	v_mul_f32_e32 v213, v49, v213                              // 00000001A038: 0BABAB31
	v_mul_f32_e32 v214, v49, v214                              // 00000001A03C: 0BADAD31
	v_mul_f32_e32 v215, v49, v215                              // 00000001A040: 0BAFAF31
	s_waitcnt lgkmcnt(0)                                       // 00000001A044: BF8CC07F
	s_barrier                                                  // 00000001A048: BF8A0000
	ds_read_b32 v64, v7 offset:16896                           // 00000001A04C: D86C4200 40000007
	ds_read_b32 v65, v7 offset:16960                           // 00000001A054: D86C4240 41000007
	ds_read_b32 v66, v7 offset:17024                           // 00000001A05C: D86C4280 42000007
	ds_read_b32 v67, v7 offset:17088                           // 00000001A064: D86C42C0 43000007
	ds_read_b32 v68, v7 offset:17152                           // 00000001A06C: D86C4300 44000007
	ds_read_b32 v69, v7 offset:17216                           // 00000001A074: D86C4340 45000007
	ds_read_b32 v70, v7 offset:17280                           // 00000001A07C: D86C4380 46000007
	ds_read_b32 v71, v7 offset:17344                           // 00000001A084: D86C43C0 47000007
	ds_read_b32 v72, v7 offset:17408                           // 00000001A08C: D86C4400 48000007
	ds_read_b32 v73, v7 offset:17472                           // 00000001A094: D86C4440 49000007
	ds_read_b32 v74, v7 offset:17536                           // 00000001A09C: D86C4480 4A000007
	ds_read_b32 v75, v7 offset:17600                           // 00000001A0A4: D86C44C0 4B000007
	ds_read_b32 v76, v7 offset:17664                           // 00000001A0AC: D86C4500 4C000007
	ds_read_b32 v77, v7 offset:17728                           // 00000001A0B4: D86C4540 4D000007
	ds_read_b32 v78, v7 offset:17792                           // 00000001A0BC: D86C4580 4E000007
	ds_read_b32 v79, v7 offset:17856                           // 00000001A0C4: D86C45C0 4F000007
	buffer_load_dwordx4 a[60:63], v29, s[16:19], 0 offen offset:1024// 00000001A0CC: E05C1400 80843C1D
	v_mul_f32_e32 v176, v44, v176                              // 00000001A0D4: 0B61612C
	v_mul_f32_e32 v177, v44, v177                              // 00000001A0D8: 0B63632C
	v_mul_f32_e32 v178, v44, v178                              // 00000001A0DC: 0B65652C
	v_mul_f32_e32 v179, v44, v179                              // 00000001A0E0: 0B67672C
	v_mul_f32_e32 v180, v44, v180                              // 00000001A0E4: 0B69692C
	v_mul_f32_e32 v181, v44, v181                              // 00000001A0E8: 0B6B6B2C
	v_mul_f32_e32 v182, v44, v182                              // 00000001A0EC: 0B6D6D2C
	v_mul_f32_e32 v183, v44, v183                              // 00000001A0F0: 0B6F6F2C
	s_waitcnt lgkmcnt(0)                                       // 00000001A0F4: BF8CC07F
	v_max3_f32 v48, v64, v65, v48                              // 00000001A0F8: D1D30030 04C28340
	v_max3_f32 v48, v66, v67, v48                              // 00000001A100: D1D30030 04C28742
	v_max3_f32 v48, v68, v69, v48                              // 00000001A108: D1D30030 04C28B44
	v_max3_f32 v48, v70, v71, v48                              // 00000001A110: D1D30030 04C28F46
	v_max3_f32 v48, v72, v73, v48                              // 00000001A118: D1D30030 04C29348
	v_max3_f32 v48, v74, v75, v48                              // 00000001A120: D1D30030 04C2974A
	v_max3_f32 v48, v76, v77, v48                              // 00000001A128: D1D30030 04C29B4C
	v_max3_f32 v48, v78, v79, v48                              // 00000001A130: D1D30030 04C29F4E
	buffer_load_dwordx4 a[96:99], v34, s[20:23], 0 offen       // 00000001A138: E05C1000 80856022
	v_mov_b32_e32 v64, 0xff800000                              // 00000001A140: 7E8002FF FF800000
	v_cmp_eq_u32_e64 s[40:41], v64, v11                        // 00000001A148: D0CA0028 00021740
	s_nop 1                                                    // 00000001A150: BF800001
	v_max_f32_e32 v15, v48, v11                                // 00000001A154: 161E1730
	v_mul_f32_e32 v53, s64, v15                                // 00000001A158: 0A6A1E40
	v_fma_f32 v112, v112, s64, -v53                            // 00000001A15C: D1CB0070 84D48170
	v_fma_f32 v113, v113, s64, -v53                            // 00000001A164: D1CB0071 84D48171
	v_fma_f32 v114, v114, s64, -v53                            // 00000001A16C: D1CB0072 84D48172
	v_fma_f32 v115, v115, s64, -v53                            // 00000001A174: D1CB0073 84D48173
	v_fma_f32 v116, v116, s64, -v53                            // 00000001A17C: D1CB0074 84D48174
	v_fma_f32 v117, v117, s64, -v53                            // 00000001A184: D1CB0075 84D48175
	v_fma_f32 v118, v118, s64, -v53                            // 00000001A18C: D1CB0076 84D48176
	v_fma_f32 v119, v119, s64, -v53                            // 00000001A194: D1CB0077 84D48177
	v_fma_f32 v120, v120, s64, -v53                            // 00000001A19C: D1CB0078 84D48178
	v_fma_f32 v121, v121, s64, -v53                            // 00000001A1A4: D1CB0079 84D48179
	v_fma_f32 v122, v122, s64, -v53                            // 00000001A1AC: D1CB007A 84D4817A
	v_fma_f32 v123, v123, s64, -v53                            // 00000001A1B4: D1CB007B 84D4817B
	v_fma_f32 v124, v124, s64, -v53                            // 00000001A1BC: D1CB007C 84D4817C
	v_fma_f32 v125, v125, s64, -v53                            // 00000001A1C4: D1CB007D 84D4817D
	v_fma_f32 v126, v126, s64, -v53                            // 00000001A1CC: D1CB007E 84D4817E
	v_fma_f32 v127, v127, s64, -v53                            // 00000001A1D4: D1CB007F 84D4817F
	buffer_load_dwordx4 a[100:103], v35, s[20:23], 0 offen     // 00000001A1DC: E05C1000 80856423
	v_exp_f32_e32 v112, v112                                   // 00000001A1E4: 7EE04170
	v_exp_f32_e32 v113, v113                                   // 00000001A1E8: 7EE24171
	v_exp_f32_e32 v114, v114                                   // 00000001A1EC: 7EE44172
	v_exp_f32_e32 v115, v115                                   // 00000001A1F0: 7EE64173
	v_exp_f32_e32 v116, v116                                   // 00000001A1F4: 7EE84174
	v_exp_f32_e32 v117, v117                                   // 00000001A1F8: 7EEA4175
	v_exp_f32_e32 v118, v118                                   // 00000001A1FC: 7EEC4176
	v_exp_f32_e32 v119, v119                                   // 00000001A200: 7EEE4177
	v_exp_f32_e32 v120, v120                                   // 00000001A204: 7EF04178
	v_exp_f32_e32 v121, v121                                   // 00000001A208: 7EF24179
	v_exp_f32_e32 v122, v122                                   // 00000001A20C: 7EF4417A
	v_exp_f32_e32 v123, v123                                   // 00000001A210: 7EF6417B
	v_exp_f32_e32 v124, v124                                   // 00000001A214: 7EF8417C
	v_exp_f32_e32 v125, v125                                   // 00000001A218: 7EFA417D
	v_exp_f32_e32 v126, v126                                   // 00000001A21C: 7EFC417E
	v_exp_f32_e32 v127, v127                                   // 00000001A220: 7EFE417F
	buffer_load_dwordx4 a[104:107], v36, s[20:23], 0 offen     // 00000001A224: E05C1000 80856824
	v_mul_f32_dpp v240, v252, v112 quad_perm:[0,0,0,0] row_mask:0xf bank_mask:0xf// 00000001A22C: 0BE0E0FA FF0000FC
	v_mul_f32_dpp v241, v252, v113 quad_perm:[1,1,1,1] row_mask:0xf bank_mask:0xf// 00000001A234: 0BE2E2FA FF0055FC
	v_mul_f32_dpp v242, v252, v114 quad_perm:[2,2,2,2] row_mask:0xf bank_mask:0xf// 00000001A23C: 0BE4E4FA FF00AAFC
	v_mul_f32_dpp v243, v252, v115 quad_perm:[3,3,3,3] row_mask:0xf bank_mask:0xf// 00000001A244: 0BE6E6FA FF00FFFC
	v_mul_f32_dpp v244, v253, v116 quad_perm:[0,0,0,0] row_mask:0xf bank_mask:0xf// 00000001A24C: 0BE8E8FA FF0000FD
	v_mul_f32_dpp v245, v253, v117 quad_perm:[1,1,1,1] row_mask:0xf bank_mask:0xf// 00000001A254: 0BEAEAFA FF0055FD
	v_mul_f32_dpp v246, v253, v118 quad_perm:[2,2,2,2] row_mask:0xf bank_mask:0xf// 00000001A25C: 0BECECFA FF00AAFD
	v_mul_f32_dpp v247, v253, v119 quad_perm:[3,3,3,3] row_mask:0xf bank_mask:0xf// 00000001A264: 0BEEEEFA FF00FFFD
	v_mul_f32_dpp v248, v254, v120 quad_perm:[0,0,0,0] row_mask:0xf bank_mask:0xf// 00000001A26C: 0BF0F0FA FF0000FE
	v_mul_f32_dpp v249, v254, v121 quad_perm:[1,1,1,1] row_mask:0xf bank_mask:0xf// 00000001A274: 0BF2F2FA FF0055FE
	v_mul_f32_dpp v250, v254, v122 quad_perm:[2,2,2,2] row_mask:0xf bank_mask:0xf// 00000001A27C: 0BF4F4FA FF00AAFE
	v_mul_f32_dpp v251, v254, v123 quad_perm:[3,3,3,3] row_mask:0xf bank_mask:0xf// 00000001A284: 0BF6F6FA FF00FFFE
	v_mul_f32_dpp v252, v255, v124 quad_perm:[0,0,0,0] row_mask:0xf bank_mask:0xf// 00000001A28C: 0BF8F8FA FF0000FF
	v_mul_f32_dpp v253, v255, v125 quad_perm:[1,1,1,1] row_mask:0xf bank_mask:0xf// 00000001A294: 0BFAFAFA FF0055FF
	v_mul_f32_dpp v254, v255, v126 quad_perm:[2,2,2,2] row_mask:0xf bank_mask:0xf// 00000001A29C: 0BFCFCFA FF00AAFF
	v_mul_f32_dpp v255, v255, v127 quad_perm:[3,3,3,3] row_mask:0xf bank_mask:0xf// 00000001A2A4: 0BFEFEFA FF00FFFF
	v_mov_b32_e32 v48, 0x358637bd                              // 00000001A2AC: 7E6002FF 358637BD
	v_max3_f32 v48, |v240|, |v241|, v48                        // 00000001A2B4: D1D30330 04C3E3F0
	v_max3_f32 v48, |v242|, |v243|, v48                        // 00000001A2BC: D1D30330 04C3E7F2
	v_max3_f32 v48, |v244|, |v245|, v48                        // 00000001A2C4: D1D30330 04C3EBF4
	v_max3_f32 v48, |v246|, |v247|, v48                        // 00000001A2CC: D1D30330 04C3EFF6
	v_max3_f32 v48, |v248|, |v249|, v48                        // 00000001A2D4: D1D30330 04C3F3F8
	v_max3_f32 v48, |v250|, |v251|, v48                        // 00000001A2DC: D1D30330 04C3F7FA
	v_max3_f32 v48, |v252|, |v253|, v48                        // 00000001A2E4: D1D30330 04C3FBFC
	v_max3_f32 v48, |v254|, |v255|, v48                        // 00000001A2EC: D1D30330 04C3FFFE
	buffer_load_dwordx4 a[108:111], v37, s[20:23], 0 offen     // 00000001A2F4: E05C1000 80856C25
	ds_write_b32 v8, v48 offset:20992                          // 00000001A2FC: D81A5200 00003008
	v_sub_f32_e32 v49, v11, v15                                // 00000001A304: 04621F0B
	v_cndmask_b32_e64 v49, v49, 0, s[40:41]                    // 00000001A308: D1000031 00A10131
	v_mov_b32_e32 v11, v15                                     // 00000001A310: 7E16030F
	v_mul_f32_e32 v49, s64, v49                                // 00000001A314: 0A626240
	v_exp_f32_e32 v49, v49                                     // 00000001A318: 7E624131
	s_waitcnt lgkmcnt(0)                                       // 00000001A31C: BF8CC07F
	s_barrier                                                  // 00000001A320: BF8A0000
	ds_read_b32 v64, v7 offset:20992                           // 00000001A324: D86C5200 40000007
	ds_read_b32 v65, v7 offset:21056                           // 00000001A32C: D86C5240 41000007
	ds_read_b32 v66, v7 offset:21120                           // 00000001A334: D86C5280 42000007
	ds_read_b32 v67, v7 offset:21184                           // 00000001A33C: D86C52C0 43000007
	ds_read_b32 v68, v7 offset:21248                           // 00000001A344: D86C5300 44000007
	ds_read_b32 v69, v7 offset:21312                           // 00000001A34C: D86C5340 45000007
	ds_read_b32 v70, v7 offset:21376                           // 00000001A354: D86C5380 46000007
	ds_read_b32 v71, v7 offset:21440                           // 00000001A35C: D86C53C0 47000007
	ds_read_b32 v72, v7 offset:21504                           // 00000001A364: D86C5400 48000007
	ds_read_b32 v73, v7 offset:21568                           // 00000001A36C: D86C5440 49000007
	ds_read_b32 v74, v7 offset:21632                           // 00000001A374: D86C5480 4A000007
	ds_read_b32 v75, v7 offset:21696                           // 00000001A37C: D86C54C0 4B000007
	ds_read_b32 v76, v7 offset:21760                           // 00000001A384: D86C5500 4C000007
	ds_read_b32 v77, v7 offset:21824                           // 00000001A38C: D86C5540 4D000007
	ds_read_b32 v78, v7 offset:21888                           // 00000001A394: D86C5580 4E000007
	ds_read_b32 v79, v7 offset:21952                           // 00000001A39C: D86C55C0 4F000007
	v_mul_f32_e32 v38, v49, v38                                // 00000001A3A4: 0A4C4D31
	v_mov_b32_e32 v15, v112                                    // 00000001A3A8: 7E1E0370
	v_add_f32_e32 v15, v113, v15                               // 00000001A3AC: 021E1F71
	v_add_f32_e32 v15, v114, v15                               // 00000001A3B0: 021E1F72
	v_add_f32_e32 v15, v115, v15                               // 00000001A3B4: 021E1F73
	v_add_f32_e32 v15, v116, v15                               // 00000001A3B8: 021E1F74
	v_add_f32_e32 v15, v117, v15                               // 00000001A3BC: 021E1F75
	v_add_f32_e32 v15, v118, v15                               // 00000001A3C0: 021E1F76
	v_add_f32_e32 v15, v119, v15                               // 00000001A3C4: 021E1F77
	v_add_f32_e32 v15, v120, v15                               // 00000001A3C8: 021E1F78
	v_add_f32_e32 v15, v121, v15                               // 00000001A3CC: 021E1F79
	v_add_f32_e32 v15, v122, v15                               // 00000001A3D0: 021E1F7A
	v_add_f32_e32 v15, v123, v15                               // 00000001A3D4: 021E1F7B
	v_add_f32_e32 v15, v124, v15                               // 00000001A3D8: 021E1F7C
	v_add_f32_e32 v15, v125, v15                               // 00000001A3DC: 021E1F7D
	v_add_f32_e32 v15, v126, v15                               // 00000001A3E0: 021E1F7E
	v_add_f32_e32 v15, v127, v15                               // 00000001A3E4: 021E1F7F
	v_add_f32_e32 v38, v15, v38                                // 00000001A3E8: 024C4D0F
	s_waitcnt lgkmcnt(0)                                       // 00000001A3EC: BF8CC07F
	v_max3_f32 v48, |v64|, |v65|, v48                          // 00000001A3F0: D1D30330 04C28340
	v_max3_f32 v48, |v66|, |v67|, v48                          // 00000001A3F8: D1D30330 04C28742
	v_max3_f32 v48, |v68|, |v69|, v48                          // 00000001A400: D1D30330 04C28B44
	v_max3_f32 v48, |v70|, |v71|, v48                          // 00000001A408: D1D30330 04C28F46
	v_max3_f32 v48, |v72|, |v73|, v48                          // 00000001A410: D1D30330 04C29348
	v_max3_f32 v48, |v74|, |v75|, v48                          // 00000001A418: D1D30330 04C2974A
	v_max3_f32 v48, |v76|, |v77|, v48                          // 00000001A420: D1D30330 04C29B4C
	v_max3_f32 v48, |v78|, |v79|, v48                          // 00000001A428: D1D30330 04C29F4E
	s_nop 2                                                    // 00000001A430: BF800002
	v_rcp_f32_e32 v48, v48                                     // 00000001A434: 7E604530
	s_nop 1                                                    // 00000001A438: BF800001
	v_mul_f32_e32 v48, 0x43e00000, v48                         // 00000001A43C: 0A6060FF 43E00000
	v_mul_f32_e32 v112, v48, v240                              // 00000001A444: 0AE1E130
	v_mul_f32_e32 v113, v48, v241                              // 00000001A448: 0AE3E330
	v_mul_f32_e32 v114, v48, v242                              // 00000001A44C: 0AE5E530
	v_mul_f32_e32 v115, v48, v243                              // 00000001A450: 0AE7E730
	v_mul_f32_e32 v116, v48, v244                              // 00000001A454: 0AE9E930
	v_mul_f32_e32 v117, v48, v245                              // 00000001A458: 0AEBEB30
	v_mul_f32_e32 v118, v48, v246                              // 00000001A45C: 0AEDED30
	v_mul_f32_e32 v119, v48, v247                              // 00000001A460: 0AEFEF30
	v_mul_f32_e32 v120, v48, v248                              // 00000001A464: 0AF1F130
	v_mul_f32_e32 v121, v48, v249                              // 00000001A468: 0AF3F330
	v_mul_f32_e32 v122, v48, v250                              // 00000001A46C: 0AF5F530
	v_mul_f32_e32 v123, v48, v251                              // 00000001A470: 0AF7F730
	v_mul_f32_e32 v124, v48, v252                              // 00000001A474: 0AF9F930
	v_mul_f32_e32 v125, v48, v253                              // 00000001A478: 0AFBFB30
	v_mul_f32_e32 v126, v48, v254                              // 00000001A47C: 0AFDFD30
	v_mul_f32_e32 v127, v48, v255                              // 00000001A480: 0AFFFF30
	v_cvt_pk_fp8_f32 v112, v112, v113                          // 00000001A484: D2A20070 0002E370
	v_cvt_pk_fp8_f32 v112, v114, v115 op_sel:[0,0,1]           // 00000001A48C: D2A24070 0002E772
	v_cvt_pk_fp8_f32 v113, v116, v117                          // 00000001A494: D2A20071 0002EB74
	v_cvt_pk_fp8_f32 v113, v118, v119 op_sel:[0,0,1]           // 00000001A49C: D2A24071 0002EF76
	v_cvt_pk_fp8_f32 v114, v120, v121                          // 00000001A4A4: D2A20072 0002F378
	v_cvt_pk_fp8_f32 v114, v122, v123 op_sel:[0,0,1]           // 00000001A4AC: D2A24072 0002F77A
	v_cvt_pk_fp8_f32 v115, v124, v125                          // 00000001A4B4: D2A20073 0002FB7C
	v_cvt_pk_fp8_f32 v115, v126, v127 op_sel:[0,0,1]           // 00000001A4BC: D2A24073 0002FF7E
	ds_write_b32 v10, v112 offset:25088                        // 00000001A4C4: D81A6200 0000700A
	ds_write_b32 v10, v113 offset:26112                        // 00000001A4CC: D81A6600 0000710A
	ds_write_b32 v10, v114 offset:27136                        // 00000001A4D4: D81A6A00 0000720A
	ds_write_b32 v10, v115 offset:28160                        // 00000001A4DC: D81A6E00 0000730A
	v_add_f32_e32 v208, v208, v176                             // 00000001A4E4: 03A161D0
	v_add_f32_e32 v209, v209, v177                             // 00000001A4E8: 03A363D1
	v_add_f32_e32 v210, v210, v178                             // 00000001A4EC: 03A565D2
	v_add_f32_e32 v211, v211, v179                             // 00000001A4F0: 03A767D3
	v_add_f32_e32 v212, v212, v180                             // 00000001A4F4: 03A969D4
	v_add_f32_e32 v213, v213, v181                             // 00000001A4F8: 03AB6BD5
	v_add_f32_e32 v214, v214, v182                             // 00000001A4FC: 03AD6DD6
	v_add_f32_e32 v215, v215, v183                             // 00000001A500: 03AF6FD7
	v_rcp_f32_e32 v44, v48                                     // 00000001A504: 7E584530
	s_waitcnt lgkmcnt(0)                                       // 00000001A508: BF8CC07F
	s_barrier                                                  // 00000001A50C: BF8A0000
	ds_read_b64 v[112:113], v9 offset:25088                    // 00000001A510: D8EC6200 70000009
	ds_read_b64 v[114:115], v9 offset:25216                    // 00000001A518: D8EC6280 72000009
	ds_read_b64 v[116:117], v9 offset:26112                    // 00000001A520: D8EC6600 74000009
	ds_read_b64 v[118:119], v9 offset:26240                    // 00000001A528: D8EC6680 76000009
	ds_read_b64 v[120:121], v9 offset:27136                    // 00000001A530: D8EC6A00 78000009
	ds_read_b64 v[122:123], v9 offset:27264                    // 00000001A538: D8EC6A80 7A000009
	ds_read_b64 v[124:125], v9 offset:28160                    // 00000001A540: D8EC6E00 7C000009
	ds_read_b64 v[126:127], v9 offset:28288                    // 00000001A548: D8EC6E80 7E000009
	v_mov_b32_dpp v64, v42 row_shr:4 row_mask:0xf bank_mask:0xf// 00000001A550: 7E8002FA FF01142A
	v_mov_b32_dpp v65, v42 row_shl:4 row_mask:0xf bank_mask:0xf// 00000001A558: 7E8202FA FF01042A
	v_cndmask_b32_e64 v248, v42, v64, s[44:45]                 // 00000001A560: D10000F8 00B2812A
	v_cndmask_b32_e64 v249, v65, v42, s[44:45]                 // 00000001A568: D10000F9 00B25541
	v_mov_b32_dpp v64, v248 row_shr:8 row_mask:0xf bank_mask:0xf// 00000001A570: 7E8002FA FF0118F8
	v_mov_b32_dpp v65, v248 row_shl:8 row_mask:0xf bank_mask:0xf// 00000001A578: 7E8202FA FF0108F8
	v_mov_b32_dpp v66, v249 row_shr:8 row_mask:0xf bank_mask:0xf// 00000001A580: 7E8402FA FF0118F9
	v_mov_b32_dpp v67, v249 row_shl:8 row_mask:0xf bank_mask:0xf// 00000001A588: 7E8602FA FF0108F9
	v_mov_b32_e32 v68, v248                                    // 00000001A590: 7E8803F8
	v_mov_b32_e32 v69, v249                                    // 00000001A594: 7E8A03F9
	v_cndmask_b32_e64 v248, v68, v64, s[42:43]                 // 00000001A598: D10000F8 00AA8144
	v_cndmask_b32_e64 v250, v68, v65, s[78:79]                 // 00000001A5A0: D10000FA 013A8344
	v_cndmask_b32_e64 v249, v69, v66, s[42:43]                 // 00000001A5A8: D10000F9 00AA8545
	v_cndmask_b32_e64 v251, v69, v67, s[78:79]                 // 00000001A5B0: D10000FB 013A8745
	v_mov_b32_dpp v64, v57 row_shr:4 row_mask:0xf bank_mask:0xf// 00000001A5B8: 7E8002FA FF011439
	v_mov_b32_dpp v65, v57 row_shl:4 row_mask:0xf bank_mask:0xf// 00000001A5C0: 7E8202FA FF010439
	v_cndmask_b32_e64 v252, v57, v64, s[44:45]                 // 00000001A5C8: D10000FC 00B28139
	v_cndmask_b32_e64 v253, v65, v57, s[44:45]                 // 00000001A5D0: D10000FD 00B27341
	v_mov_b32_dpp v64, v252 row_shr:8 row_mask:0xf bank_mask:0xf// 00000001A5D8: 7E8002FA FF0118FC
	v_mov_b32_dpp v65, v252 row_shl:8 row_mask:0xf bank_mask:0xf// 00000001A5E0: 7E8202FA FF0108FC
	v_mov_b32_dpp v66, v253 row_shr:8 row_mask:0xf bank_mask:0xf// 00000001A5E8: 7E8402FA FF0118FD
	v_mov_b32_dpp v67, v253 row_shl:8 row_mask:0xf bank_mask:0xf// 00000001A5F0: 7E8602FA FF0108FD
	v_mov_b32_e32 v68, v252                                    // 00000001A5F8: 7E8803FC
	v_mov_b32_e32 v69, v253                                    // 00000001A5FC: 7E8A03FD
	v_cndmask_b32_e64 v252, v68, v64, s[42:43]                 // 00000001A600: D10000FC 00AA8144
	v_cndmask_b32_e64 v254, v68, v65, s[78:79]                 // 00000001A608: D10000FE 013A8344
	v_cndmask_b32_e64 v253, v69, v66, s[42:43]                 // 00000001A610: D10000FD 00AA8545
	v_cndmask_b32_e64 v255, v69, v67, s[78:79]                 // 00000001A618: D10000FF 013A8745
	v_mul_f32_e32 v128, v19, v128                              // 00000001A620: 0B010113
	v_mul_f32_e32 v129, v19, v129                              // 00000001A624: 0B030313
	v_mul_f32_e32 v130, v19, v130                              // 00000001A628: 0B050513
	v_mul_f32_e32 v131, v19, v131                              // 00000001A62C: 0B070713
	v_mul_f32_e32 v132, v19, v132                              // 00000001A630: 0B090913
	v_mul_f32_e32 v133, v19, v133                              // 00000001A634: 0B0B0B13
	v_mul_f32_e32 v134, v19, v134                              // 00000001A638: 0B0D0D13
	v_mul_f32_e32 v135, v19, v135                              // 00000001A63C: 0B0F0F13
	v_mul_f32_e32 v136, v19, v136                              // 00000001A640: 0B111113
	v_mul_f32_e32 v137, v19, v137                              // 00000001A644: 0B131313
	v_mul_f32_e32 v138, v19, v138                              // 00000001A648: 0B151513
	v_mul_f32_e32 v139, v19, v139                              // 00000001A64C: 0B171713
	v_mul_f32_e32 v140, v19, v140                              // 00000001A650: 0B191913
	v_mul_f32_e32 v141, v19, v141                              // 00000001A654: 0B1B1B13
	v_mul_f32_e32 v142, v19, v142                              // 00000001A658: 0B1D1D13
	v_mul_f32_e32 v143, v19, v143                              // 00000001A65C: 0B1F1F13
	v_mul_f32_dpp v128, v248, v128 quad_perm:[0,0,0,0] row_mask:0xf bank_mask:0xf// 00000001A660: 0B0100FA FF0000F8
	v_mul_f32_dpp v129, v248, v129 quad_perm:[1,1,1,1] row_mask:0xf bank_mask:0xf// 00000001A668: 0B0302FA FF0055F8
	v_mul_f32_dpp v130, v248, v130 quad_perm:[2,2,2,2] row_mask:0xf bank_mask:0xf// 00000001A670: 0B0504FA FF00AAF8
	v_mul_f32_dpp v131, v248, v131 quad_perm:[3,3,3,3] row_mask:0xf bank_mask:0xf// 00000001A678: 0B0706FA FF00FFF8
	v_mul_f32_dpp v132, v249, v132 quad_perm:[0,0,0,0] row_mask:0xf bank_mask:0xf// 00000001A680: 0B0908FA FF0000F9
	v_mul_f32_dpp v133, v249, v133 quad_perm:[1,1,1,1] row_mask:0xf bank_mask:0xf// 00000001A688: 0B0B0AFA FF0055F9
	v_mul_f32_dpp v134, v249, v134 quad_perm:[2,2,2,2] row_mask:0xf bank_mask:0xf// 00000001A690: 0B0D0CFA FF00AAF9
	v_mul_f32_dpp v135, v249, v135 quad_perm:[3,3,3,3] row_mask:0xf bank_mask:0xf// 00000001A698: 0B0F0EFA FF00FFF9
	v_mul_f32_dpp v136, v250, v136 quad_perm:[0,0,0,0] row_mask:0xf bank_mask:0xf// 00000001A6A0: 0B1110FA FF0000FA
	v_mul_f32_dpp v137, v250, v137 quad_perm:[1,1,1,1] row_mask:0xf bank_mask:0xf// 00000001A6A8: 0B1312FA FF0055FA
	v_mul_f32_dpp v138, v250, v138 quad_perm:[2,2,2,2] row_mask:0xf bank_mask:0xf// 00000001A6B0: 0B1514FA FF00AAFA
	v_mul_f32_dpp v139, v250, v139 quad_perm:[3,3,3,3] row_mask:0xf bank_mask:0xf// 00000001A6B8: 0B1716FA FF00FFFA
	v_mul_f32_dpp v140, v251, v140 quad_perm:[0,0,0,0] row_mask:0xf bank_mask:0xf// 00000001A6C0: 0B1918FA FF0000FB
	v_mul_f32_dpp v141, v251, v141 quad_perm:[1,1,1,1] row_mask:0xf bank_mask:0xf// 00000001A6C8: 0B1B1AFA FF0055FB
	v_mul_f32_dpp v142, v251, v142 quad_perm:[2,2,2,2] row_mask:0xf bank_mask:0xf// 00000001A6D0: 0B1D1CFA FF00AAFB
	v_mul_f32_dpp v143, v251, v143 quad_perm:[3,3,3,3] row_mask:0xf bank_mask:0xf// 00000001A6D8: 0B1F1EFA FF00FFFB
	v_mov_b32_e32 v48, v128                                    // 00000001A6E0: 7E600380
	v_max3_f32 v48, v128, v129, v48                            // 00000001A6E4: D1D30030 04C30380
	v_max3_f32 v48, v130, v131, v48                            // 00000001A6EC: D1D30030 04C30782
	v_max3_f32 v48, v132, v133, v48                            // 00000001A6F4: D1D30030 04C30B84
	v_max3_f32 v48, v134, v135, v48                            // 00000001A6FC: D1D30030 04C30F86
	v_max3_f32 v48, v136, v137, v48                            // 00000001A704: D1D30030 04C31388
	v_max3_f32 v48, v138, v139, v48                            // 00000001A70C: D1D30030 04C3178A
	v_max3_f32 v48, v140, v141, v48                            // 00000001A714: D1D30030 04C31B8C
	v_max3_f32 v48, v142, v143, v48                            // 00000001A71C: D1D30030 04C31F8E
	ds_write_b32 v8, v48 offset:16896                          // 00000001A724: D81A4200 00003008
	v_mul_f32_e32 v216, v50, v216                              // 00000001A72C: 0BB1B132
	v_mul_f32_e32 v217, v50, v217                              // 00000001A730: 0BB3B332
	v_mul_f32_e32 v218, v50, v218                              // 00000001A734: 0BB5B532
	v_mul_f32_e32 v219, v50, v219                              // 00000001A738: 0BB7B732
	v_mul_f32_e32 v220, v50, v220                              // 00000001A73C: 0BB9B932
	v_mul_f32_e32 v221, v50, v221                              // 00000001A740: 0BBBBB32
	v_mul_f32_e32 v222, v50, v222                              // 00000001A744: 0BBDBD32
	v_mul_f32_e32 v223, v50, v223                              // 00000001A748: 0BBFBF32
	s_waitcnt lgkmcnt(0)                                       // 00000001A74C: BF8CC07F
	s_barrier                                                  // 00000001A750: BF8A0000
	ds_read_b32 v64, v7 offset:16896                           // 00000001A754: D86C4200 40000007
	ds_read_b32 v65, v7 offset:16960                           // 00000001A75C: D86C4240 41000007
	ds_read_b32 v66, v7 offset:17024                           // 00000001A764: D86C4280 42000007
	ds_read_b32 v67, v7 offset:17088                           // 00000001A76C: D86C42C0 43000007
	ds_read_b32 v68, v7 offset:17152                           // 00000001A774: D86C4300 44000007
	ds_read_b32 v69, v7 offset:17216                           // 00000001A77C: D86C4340 45000007
	ds_read_b32 v70, v7 offset:17280                           // 00000001A784: D86C4380 46000007
	ds_read_b32 v71, v7 offset:17344                           // 00000001A78C: D86C43C0 47000007
	ds_read_b32 v72, v7 offset:17408                           // 00000001A794: D86C4400 48000007
	ds_read_b32 v73, v7 offset:17472                           // 00000001A79C: D86C4440 49000007
	ds_read_b32 v74, v7 offset:17536                           // 00000001A7A4: D86C4480 4A000007
	ds_read_b32 v75, v7 offset:17600                           // 00000001A7AC: D86C44C0 4B000007
	ds_read_b32 v76, v7 offset:17664                           // 00000001A7B4: D86C4500 4C000007
	ds_read_b32 v77, v7 offset:17728                           // 00000001A7BC: D86C4540 4D000007
	ds_read_b32 v78, v7 offset:17792                           // 00000001A7C4: D86C4580 4E000007
	ds_read_b32 v79, v7 offset:17856                           // 00000001A7CC: D86C45C0 4F000007
	v_mul_f32_e32 v184, v45, v184                              // 00000001A7D4: 0B71712D
	v_mul_f32_e32 v185, v45, v185                              // 00000001A7D8: 0B73732D
	v_mul_f32_e32 v186, v45, v186                              // 00000001A7DC: 0B75752D
	v_mul_f32_e32 v187, v45, v187                              // 00000001A7E0: 0B77772D
	v_mul_f32_e32 v188, v45, v188                              // 00000001A7E4: 0B79792D
	v_mul_f32_e32 v189, v45, v189                              // 00000001A7E8: 0B7B7B2D
	v_mul_f32_e32 v190, v45, v190                              // 00000001A7EC: 0B7D7D2D
	v_mul_f32_e32 v191, v45, v191                              // 00000001A7F0: 0B7F7F2D
	s_waitcnt lgkmcnt(0)                                       // 00000001A7F4: BF8CC07F
	v_max3_f32 v48, v64, v65, v48                              // 00000001A7F8: D1D30030 04C28340
	v_max3_f32 v48, v66, v67, v48                              // 00000001A800: D1D30030 04C28742
	v_max3_f32 v48, v68, v69, v48                              // 00000001A808: D1D30030 04C28B44
	v_max3_f32 v48, v70, v71, v48                              // 00000001A810: D1D30030 04C28F46
	v_max3_f32 v48, v72, v73, v48                              // 00000001A818: D1D30030 04C29348
	v_max3_f32 v48, v74, v75, v48                              // 00000001A820: D1D30030 04C2974A
	v_max3_f32 v48, v76, v77, v48                              // 00000001A828: D1D30030 04C29B4C
	v_max3_f32 v48, v78, v79, v48                              // 00000001A830: D1D30030 04C29F4E
	v_mov_b32_e32 v64, 0xff800000                              // 00000001A838: 7E8002FF FF800000
	v_cmp_eq_u32_e64 s[40:41], v64, v12                        // 00000001A840: D0CA0028 00021940
	s_nop 1                                                    // 00000001A848: BF800001
	v_max_f32_e32 v15, v48, v12                                // 00000001A84C: 161E1930
	v_mul_f32_e32 v53, s64, v15                                // 00000001A850: 0A6A1E40
	v_fma_f32 v128, v128, s64, -v53                            // 00000001A854: D1CB0080 84D48180
	v_fma_f32 v129, v129, s64, -v53                            // 00000001A85C: D1CB0081 84D48181
	v_fma_f32 v130, v130, s64, -v53                            // 00000001A864: D1CB0082 84D48182
	v_fma_f32 v131, v131, s64, -v53                            // 00000001A86C: D1CB0083 84D48183
	v_fma_f32 v132, v132, s64, -v53                            // 00000001A874: D1CB0084 84D48184
	v_fma_f32 v133, v133, s64, -v53                            // 00000001A87C: D1CB0085 84D48185
	v_fma_f32 v134, v134, s64, -v53                            // 00000001A884: D1CB0086 84D48186
	v_fma_f32 v135, v135, s64, -v53                            // 00000001A88C: D1CB0087 84D48187
	v_fma_f32 v136, v136, s64, -v53                            // 00000001A894: D1CB0088 84D48188
	v_fma_f32 v137, v137, s64, -v53                            // 00000001A89C: D1CB0089 84D48189
	v_fma_f32 v138, v138, s64, -v53                            // 00000001A8A4: D1CB008A 84D4818A
	v_fma_f32 v139, v139, s64, -v53                            // 00000001A8AC: D1CB008B 84D4818B
	v_fma_f32 v140, v140, s64, -v53                            // 00000001A8B4: D1CB008C 84D4818C
	v_fma_f32 v141, v141, s64, -v53                            // 00000001A8BC: D1CB008D 84D4818D
	v_fma_f32 v142, v142, s64, -v53                            // 00000001A8C4: D1CB008E 84D4818E
	v_fma_f32 v143, v143, s64, -v53                            // 00000001A8CC: D1CB008F 84D4818F
	v_exp_f32_e32 v128, v128                                   // 00000001A8D4: 7F004180
	v_exp_f32_e32 v129, v129                                   // 00000001A8D8: 7F024181
	v_exp_f32_e32 v130, v130                                   // 00000001A8DC: 7F044182
	v_exp_f32_e32 v131, v131                                   // 00000001A8E0: 7F064183
	v_exp_f32_e32 v132, v132                                   // 00000001A8E4: 7F084184
	v_exp_f32_e32 v133, v133                                   // 00000001A8E8: 7F0A4185
	v_exp_f32_e32 v134, v134                                   // 00000001A8EC: 7F0C4186
	v_exp_f32_e32 v135, v135                                   // 00000001A8F0: 7F0E4187
	v_exp_f32_e32 v136, v136                                   // 00000001A8F4: 7F104188
	v_exp_f32_e32 v137, v137                                   // 00000001A8F8: 7F124189
	v_exp_f32_e32 v138, v138                                   // 00000001A8FC: 7F14418A
	v_exp_f32_e32 v139, v139                                   // 00000001A900: 7F16418B
	v_exp_f32_e32 v140, v140                                   // 00000001A904: 7F18418C
	v_exp_f32_e32 v141, v141                                   // 00000001A908: 7F1A418D
	v_exp_f32_e32 v142, v142                                   // 00000001A90C: 7F1C418E
	v_exp_f32_e32 v143, v143                                   // 00000001A910: 7F1E418F
	v_mul_f32_dpp v240, v252, v128 quad_perm:[0,0,0,0] row_mask:0xf bank_mask:0xf// 00000001A914: 0BE100FA FF0000FC
	v_mul_f32_dpp v241, v252, v129 quad_perm:[1,1,1,1] row_mask:0xf bank_mask:0xf// 00000001A91C: 0BE302FA FF0055FC
	v_mul_f32_dpp v242, v252, v130 quad_perm:[2,2,2,2] row_mask:0xf bank_mask:0xf// 00000001A924: 0BE504FA FF00AAFC
	v_mul_f32_dpp v243, v252, v131 quad_perm:[3,3,3,3] row_mask:0xf bank_mask:0xf// 00000001A92C: 0BE706FA FF00FFFC
	v_mul_f32_dpp v244, v253, v132 quad_perm:[0,0,0,0] row_mask:0xf bank_mask:0xf// 00000001A934: 0BE908FA FF0000FD
	v_mul_f32_dpp v245, v253, v133 quad_perm:[1,1,1,1] row_mask:0xf bank_mask:0xf// 00000001A93C: 0BEB0AFA FF0055FD
	v_mul_f32_dpp v246, v253, v134 quad_perm:[2,2,2,2] row_mask:0xf bank_mask:0xf// 00000001A944: 0BED0CFA FF00AAFD
	v_mul_f32_dpp v247, v253, v135 quad_perm:[3,3,3,3] row_mask:0xf bank_mask:0xf// 00000001A94C: 0BEF0EFA FF00FFFD
	v_mul_f32_dpp v248, v254, v136 quad_perm:[0,0,0,0] row_mask:0xf bank_mask:0xf// 00000001A954: 0BF110FA FF0000FE
	v_mul_f32_dpp v249, v254, v137 quad_perm:[1,1,1,1] row_mask:0xf bank_mask:0xf// 00000001A95C: 0BF312FA FF0055FE
	v_mul_f32_dpp v250, v254, v138 quad_perm:[2,2,2,2] row_mask:0xf bank_mask:0xf// 00000001A964: 0BF514FA FF00AAFE
	v_mul_f32_dpp v251, v254, v139 quad_perm:[3,3,3,3] row_mask:0xf bank_mask:0xf// 00000001A96C: 0BF716FA FF00FFFE
	v_mul_f32_dpp v252, v255, v140 quad_perm:[0,0,0,0] row_mask:0xf bank_mask:0xf// 00000001A974: 0BF918FA FF0000FF
	v_mul_f32_dpp v253, v255, v141 quad_perm:[1,1,1,1] row_mask:0xf bank_mask:0xf// 00000001A97C: 0BFB1AFA FF0055FF
	v_mul_f32_dpp v254, v255, v142 quad_perm:[2,2,2,2] row_mask:0xf bank_mask:0xf// 00000001A984: 0BFD1CFA FF00AAFF
	v_mul_f32_dpp v255, v255, v143 quad_perm:[3,3,3,3] row_mask:0xf bank_mask:0xf// 00000001A98C: 0BFF1EFA FF00FFFF
	v_mov_b32_e32 v48, 0x358637bd                              // 00000001A994: 7E6002FF 358637BD
	v_max3_f32 v48, |v240|, |v241|, v48                        // 00000001A99C: D1D30330 04C3E3F0
	v_max3_f32 v48, |v242|, |v243|, v48                        // 00000001A9A4: D1D30330 04C3E7F2
	v_max3_f32 v48, |v244|, |v245|, v48                        // 00000001A9AC: D1D30330 04C3EBF4
	v_max3_f32 v48, |v246|, |v247|, v48                        // 00000001A9B4: D1D30330 04C3EFF6
	v_max3_f32 v48, |v248|, |v249|, v48                        // 00000001A9BC: D1D30330 04C3F3F8
	v_max3_f32 v48, |v250|, |v251|, v48                        // 00000001A9C4: D1D30330 04C3F7FA
	v_max3_f32 v48, |v252|, |v253|, v48                        // 00000001A9CC: D1D30330 04C3FBFC
	v_max3_f32 v48, |v254|, |v255|, v48                        // 00000001A9D4: D1D30330 04C3FFFE
	ds_write_b32 v8, v48 offset:20992                          // 00000001A9DC: D81A5200 00003008
	v_sub_f32_e32 v50, v12, v15                                // 00000001A9E4: 04641F0C
	v_cndmask_b32_e64 v50, v50, 0, s[40:41]                    // 00000001A9E8: D1000032 00A10132
	v_mov_b32_e32 v12, v15                                     // 00000001A9F0: 7E18030F
	v_mul_f32_e32 v50, s64, v50                                // 00000001A9F4: 0A646440
	v_exp_f32_e32 v50, v50                                     // 00000001A9F8: 7E644132
	s_waitcnt lgkmcnt(0)                                       // 00000001A9FC: BF8CC07F
	s_barrier                                                  // 00000001AA00: BF8A0000
	ds_read_b32 v64, v7 offset:20992                           // 00000001AA04: D86C5200 40000007
	ds_read_b32 v65, v7 offset:21056                           // 00000001AA0C: D86C5240 41000007
	ds_read_b32 v66, v7 offset:21120                           // 00000001AA14: D86C5280 42000007
	ds_read_b32 v67, v7 offset:21184                           // 00000001AA1C: D86C52C0 43000007
	ds_read_b32 v68, v7 offset:21248                           // 00000001AA24: D86C5300 44000007
	ds_read_b32 v69, v7 offset:21312                           // 00000001AA2C: D86C5340 45000007
	ds_read_b32 v70, v7 offset:21376                           // 00000001AA34: D86C5380 46000007
	ds_read_b32 v71, v7 offset:21440                           // 00000001AA3C: D86C53C0 47000007
	ds_read_b32 v72, v7 offset:21504                           // 00000001AA44: D86C5400 48000007
	ds_read_b32 v73, v7 offset:21568                           // 00000001AA4C: D86C5440 49000007
	ds_read_b32 v74, v7 offset:21632                           // 00000001AA54: D86C5480 4A000007
	ds_read_b32 v75, v7 offset:21696                           // 00000001AA5C: D86C54C0 4B000007
	ds_read_b32 v76, v7 offset:21760                           // 00000001AA64: D86C5500 4C000007
	ds_read_b32 v77, v7 offset:21824                           // 00000001AA6C: D86C5540 4D000007
	ds_read_b32 v78, v7 offset:21888                           // 00000001AA74: D86C5580 4E000007
	ds_read_b32 v79, v7 offset:21952                           // 00000001AA7C: D86C55C0 4F000007
	v_mul_f32_e32 v39, v50, v39                                // 00000001AA84: 0A4E4F32
	v_mov_b32_e32 v15, v128                                    // 00000001AA88: 7E1E0380
	v_add_f32_e32 v15, v129, v15                               // 00000001AA8C: 021E1F81
	v_add_f32_e32 v15, v130, v15                               // 00000001AA90: 021E1F82
	v_add_f32_e32 v15, v131, v15                               // 00000001AA94: 021E1F83
	v_add_f32_e32 v15, v132, v15                               // 00000001AA98: 021E1F84
	v_add_f32_e32 v15, v133, v15                               // 00000001AA9C: 021E1F85
	v_add_f32_e32 v15, v134, v15                               // 00000001AAA0: 021E1F86
	v_add_f32_e32 v15, v135, v15                               // 00000001AAA4: 021E1F87
	v_add_f32_e32 v15, v136, v15                               // 00000001AAA8: 021E1F88
	v_add_f32_e32 v15, v137, v15                               // 00000001AAAC: 021E1F89
	v_add_f32_e32 v15, v138, v15                               // 00000001AAB0: 021E1F8A
	v_add_f32_e32 v15, v139, v15                               // 00000001AAB4: 021E1F8B
	v_add_f32_e32 v15, v140, v15                               // 00000001AAB8: 021E1F8C
	v_add_f32_e32 v15, v141, v15                               // 00000001AABC: 021E1F8D
	v_add_f32_e32 v15, v142, v15                               // 00000001AAC0: 021E1F8E
	v_add_f32_e32 v15, v143, v15                               // 00000001AAC4: 021E1F8F
	v_add_f32_e32 v39, v15, v39                                // 00000001AAC8: 024E4F0F
	s_waitcnt lgkmcnt(0)                                       // 00000001AACC: BF8CC07F
	v_max3_f32 v48, |v64|, |v65|, v48                          // 00000001AAD0: D1D30330 04C28340
	v_max3_f32 v48, |v66|, |v67|, v48                          // 00000001AAD8: D1D30330 04C28742
	v_max3_f32 v48, |v68|, |v69|, v48                          // 00000001AAE0: D1D30330 04C28B44
	v_max3_f32 v48, |v70|, |v71|, v48                          // 00000001AAE8: D1D30330 04C28F46
	v_max3_f32 v48, |v72|, |v73|, v48                          // 00000001AAF0: D1D30330 04C29348
	v_max3_f32 v48, |v74|, |v75|, v48                          // 00000001AAF8: D1D30330 04C2974A
	v_max3_f32 v48, |v76|, |v77|, v48                          // 00000001AB00: D1D30330 04C29B4C
	v_max3_f32 v48, |v78|, |v79|, v48                          // 00000001AB08: D1D30330 04C29F4E
	s_nop 2                                                    // 00000001AB10: BF800002
	v_rcp_f32_e32 v48, v48                                     // 00000001AB14: 7E604530
	s_nop 1                                                    // 00000001AB18: BF800001
	v_mul_f32_e32 v48, 0x43e00000, v48                         // 00000001AB1C: 0A6060FF 43E00000
	v_mul_f32_e32 v128, v48, v240                              // 00000001AB24: 0B01E130
	v_mul_f32_e32 v129, v48, v241                              // 00000001AB28: 0B03E330
	v_mul_f32_e32 v130, v48, v242                              // 00000001AB2C: 0B05E530
	v_mul_f32_e32 v131, v48, v243                              // 00000001AB30: 0B07E730
	v_mul_f32_e32 v132, v48, v244                              // 00000001AB34: 0B09E930
	v_mul_f32_e32 v133, v48, v245                              // 00000001AB38: 0B0BEB30
	v_mul_f32_e32 v134, v48, v246                              // 00000001AB3C: 0B0DED30
	v_mul_f32_e32 v135, v48, v247                              // 00000001AB40: 0B0FEF30
	v_mul_f32_e32 v136, v48, v248                              // 00000001AB44: 0B11F130
	v_mul_f32_e32 v137, v48, v249                              // 00000001AB48: 0B13F330
	v_mul_f32_e32 v138, v48, v250                              // 00000001AB4C: 0B15F530
	v_mul_f32_e32 v139, v48, v251                              // 00000001AB50: 0B17F730
	v_mul_f32_e32 v140, v48, v252                              // 00000001AB54: 0B19F930
	v_mul_f32_e32 v141, v48, v253                              // 00000001AB58: 0B1BFB30
	v_mul_f32_e32 v142, v48, v254                              // 00000001AB5C: 0B1DFD30
	v_mul_f32_e32 v143, v48, v255                              // 00000001AB60: 0B1FFF30
	v_cvt_pk_fp8_f32 v128, v128, v129                          // 00000001AB64: D2A20080 00030380
	v_cvt_pk_fp8_f32 v128, v130, v131 op_sel:[0,0,1]           // 00000001AB6C: D2A24080 00030782
	v_cvt_pk_fp8_f32 v129, v132, v133                          // 00000001AB74: D2A20081 00030B84
	v_cvt_pk_fp8_f32 v129, v134, v135 op_sel:[0,0,1]           // 00000001AB7C: D2A24081 00030F86
	v_cvt_pk_fp8_f32 v130, v136, v137                          // 00000001AB84: D2A20082 00031388
	v_cvt_pk_fp8_f32 v130, v138, v139 op_sel:[0,0,1]           // 00000001AB8C: D2A24082 0003178A
	v_cvt_pk_fp8_f32 v131, v140, v141                          // 00000001AB94: D2A20083 00031B8C
	v_cvt_pk_fp8_f32 v131, v142, v143 op_sel:[0,0,1]           // 00000001AB9C: D2A24083 00031F8E
	ds_write_b32 v10, v128 offset:29184                        // 00000001ABA4: D81A7200 0000800A
	ds_write_b32 v10, v129 offset:30208                        // 00000001ABAC: D81A7600 0000810A
	ds_write_b32 v10, v130 offset:31232                        // 00000001ABB4: D81A7A00 0000820A
	ds_write_b32 v10, v131 offset:32256                        // 00000001ABBC: D81A7E00 0000830A
	v_add_f32_e32 v216, v216, v184                             // 00000001ABC4: 03B171D8
	v_add_f32_e32 v217, v217, v185                             // 00000001ABC8: 03B373D9
	v_add_f32_e32 v218, v218, v186                             // 00000001ABCC: 03B575DA
	v_add_f32_e32 v219, v219, v187                             // 00000001ABD0: 03B777DB
	v_add_f32_e32 v220, v220, v188                             // 00000001ABD4: 03B979DC
	v_add_f32_e32 v221, v221, v189                             // 00000001ABD8: 03BB7BDD
	v_add_f32_e32 v222, v222, v190                             // 00000001ABDC: 03BD7DDE
	v_add_f32_e32 v223, v223, v191                             // 00000001ABE0: 03BF7FDF
	v_rcp_f32_e32 v45, v48                                     // 00000001ABE4: 7E5A4530
	s_waitcnt lgkmcnt(0)                                       // 00000001ABE8: BF8CC07F
	s_barrier                                                  // 00000001ABEC: BF8A0000
	ds_read_b64 v[128:129], v9 offset:29184                    // 00000001ABF0: D8EC7200 80000009
	ds_read_b64 v[130:131], v9 offset:29312                    // 00000001ABF8: D8EC7280 82000009
	ds_read_b64 v[132:133], v9 offset:30208                    // 00000001AC00: D8EC7600 84000009
	ds_read_b64 v[134:135], v9 offset:30336                    // 00000001AC08: D8EC7680 86000009
	ds_read_b64 v[136:137], v9 offset:31232                    // 00000001AC10: D8EC7A00 88000009
	ds_read_b64 v[138:139], v9 offset:31360                    // 00000001AC18: D8EC7A80 8A000009
	ds_read_b64 v[140:141], v9 offset:32256                    // 00000001AC20: D8EC7E00 8C000009
	ds_read_b64 v[142:143], v9 offset:32384                    // 00000001AC28: D8EC7E80 8E000009
	v_mov_b32_dpp v64, v42 row_shr:4 row_mask:0xf bank_mask:0xf// 00000001AC30: 7E8002FA FF01142A
	v_mov_b32_dpp v65, v42 row_shl:4 row_mask:0xf bank_mask:0xf// 00000001AC38: 7E8202FA FF01042A
	v_cndmask_b32_e64 v248, v42, v64, s[44:45]                 // 00000001AC40: D10000F8 00B2812A
	v_cndmask_b32_e64 v249, v65, v42, s[44:45]                 // 00000001AC48: D10000F9 00B25541
	v_mov_b32_dpp v64, v248 row_shr:8 row_mask:0xf bank_mask:0xf// 00000001AC50: 7E8002FA FF0118F8
	v_mov_b32_dpp v65, v248 row_shl:8 row_mask:0xf bank_mask:0xf// 00000001AC58: 7E8202FA FF0108F8
	v_mov_b32_dpp v66, v249 row_shr:8 row_mask:0xf bank_mask:0xf// 00000001AC60: 7E8402FA FF0118F9
	v_mov_b32_dpp v67, v249 row_shl:8 row_mask:0xf bank_mask:0xf// 00000001AC68: 7E8602FA FF0108F9
	v_mov_b32_e32 v68, v248                                    // 00000001AC70: 7E8803F8
	v_mov_b32_e32 v69, v249                                    // 00000001AC74: 7E8A03F9
	v_cndmask_b32_e64 v248, v68, v64, s[42:43]                 // 00000001AC78: D10000F8 00AA8144
	v_cndmask_b32_e64 v250, v68, v65, s[78:79]                 // 00000001AC80: D10000FA 013A8344
	v_cndmask_b32_e64 v249, v69, v66, s[42:43]                 // 00000001AC88: D10000F9 00AA8545
	v_cndmask_b32_e64 v251, v69, v67, s[78:79]                 // 00000001AC90: D10000FB 013A8745
	v_mov_b32_dpp v64, v57 row_shr:4 row_mask:0xf bank_mask:0xf// 00000001AC98: 7E8002FA FF011439
	v_mov_b32_dpp v65, v57 row_shl:4 row_mask:0xf bank_mask:0xf// 00000001ACA0: 7E8202FA FF010439
	v_cndmask_b32_e64 v252, v57, v64, s[44:45]                 // 00000001ACA8: D10000FC 00B28139
	v_cndmask_b32_e64 v253, v65, v57, s[44:45]                 // 00000001ACB0: D10000FD 00B27341
	v_mov_b32_dpp v64, v252 row_shr:8 row_mask:0xf bank_mask:0xf// 00000001ACB8: 7E8002FA FF0118FC
	v_mov_b32_dpp v65, v252 row_shl:8 row_mask:0xf bank_mask:0xf// 00000001ACC0: 7E8202FA FF0108FC
	v_mov_b32_dpp v66, v253 row_shr:8 row_mask:0xf bank_mask:0xf// 00000001ACC8: 7E8402FA FF0118FD
	v_mov_b32_dpp v67, v253 row_shl:8 row_mask:0xf bank_mask:0xf// 00000001ACD0: 7E8602FA FF0108FD
	v_mov_b32_e32 v68, v252                                    // 00000001ACD8: 7E8803FC
	v_mov_b32_e32 v69, v253                                    // 00000001ACDC: 7E8A03FD
	v_cndmask_b32_e64 v252, v68, v64, s[42:43]                 // 00000001ACE0: D10000FC 00AA8144
	v_cndmask_b32_e64 v254, v68, v65, s[78:79]                 // 00000001ACE8: D10000FE 013A8344
	v_cndmask_b32_e64 v253, v69, v66, s[42:43]                 // 00000001ACF0: D10000FD 00AA8545
	v_cndmask_b32_e64 v255, v69, v67, s[78:79]                 // 00000001ACF8: D10000FF 013A8745
	v_mul_f32_e32 v144, v20, v144                              // 00000001AD00: 0B212114
	v_mul_f32_e32 v145, v20, v145                              // 00000001AD04: 0B232314
	v_mul_f32_e32 v146, v20, v146                              // 00000001AD08: 0B252514
	v_mul_f32_e32 v147, v20, v147                              // 00000001AD0C: 0B272714
	v_mul_f32_e32 v148, v20, v148                              // 00000001AD10: 0B292914
	v_mul_f32_e32 v149, v20, v149                              // 00000001AD14: 0B2B2B14
	v_mul_f32_e32 v150, v20, v150                              // 00000001AD18: 0B2D2D14
	v_mul_f32_e32 v151, v20, v151                              // 00000001AD1C: 0B2F2F14
	v_mul_f32_e32 v152, v20, v152                              // 00000001AD20: 0B313114
	v_mul_f32_e32 v153, v20, v153                              // 00000001AD24: 0B333314
	v_mul_f32_e32 v154, v20, v154                              // 00000001AD28: 0B353514
	v_mul_f32_e32 v155, v20, v155                              // 00000001AD2C: 0B373714
	v_mul_f32_e32 v156, v20, v156                              // 00000001AD30: 0B393914
	v_mul_f32_e32 v157, v20, v157                              // 00000001AD34: 0B3B3B14
	v_mul_f32_e32 v158, v20, v158                              // 00000001AD38: 0B3D3D14
	v_mul_f32_e32 v159, v20, v159                              // 00000001AD3C: 0B3F3F14
	v_mul_f32_dpp v144, v248, v144 quad_perm:[0,0,0,0] row_mask:0xf bank_mask:0xf// 00000001AD40: 0B2120FA FF0000F8
	v_mul_f32_dpp v145, v248, v145 quad_perm:[1,1,1,1] row_mask:0xf bank_mask:0xf// 00000001AD48: 0B2322FA FF0055F8
	v_mul_f32_dpp v146, v248, v146 quad_perm:[2,2,2,2] row_mask:0xf bank_mask:0xf// 00000001AD50: 0B2524FA FF00AAF8
	v_mul_f32_dpp v147, v248, v147 quad_perm:[3,3,3,3] row_mask:0xf bank_mask:0xf// 00000001AD58: 0B2726FA FF00FFF8
	v_mul_f32_dpp v148, v249, v148 quad_perm:[0,0,0,0] row_mask:0xf bank_mask:0xf// 00000001AD60: 0B2928FA FF0000F9
	v_mul_f32_dpp v149, v249, v149 quad_perm:[1,1,1,1] row_mask:0xf bank_mask:0xf// 00000001AD68: 0B2B2AFA FF0055F9
	v_mul_f32_dpp v150, v249, v150 quad_perm:[2,2,2,2] row_mask:0xf bank_mask:0xf// 00000001AD70: 0B2D2CFA FF00AAF9
	v_mul_f32_dpp v151, v249, v151 quad_perm:[3,3,3,3] row_mask:0xf bank_mask:0xf// 00000001AD78: 0B2F2EFA FF00FFF9
	v_mul_f32_dpp v152, v250, v152 quad_perm:[0,0,0,0] row_mask:0xf bank_mask:0xf// 00000001AD80: 0B3130FA FF0000FA
	v_mul_f32_dpp v153, v250, v153 quad_perm:[1,1,1,1] row_mask:0xf bank_mask:0xf// 00000001AD88: 0B3332FA FF0055FA
	v_mul_f32_dpp v154, v250, v154 quad_perm:[2,2,2,2] row_mask:0xf bank_mask:0xf// 00000001AD90: 0B3534FA FF00AAFA
	v_mul_f32_dpp v155, v250, v155 quad_perm:[3,3,3,3] row_mask:0xf bank_mask:0xf// 00000001AD98: 0B3736FA FF00FFFA
	v_mul_f32_dpp v156, v251, v156 quad_perm:[0,0,0,0] row_mask:0xf bank_mask:0xf// 00000001ADA0: 0B3938FA FF0000FB
	v_mul_f32_dpp v157, v251, v157 quad_perm:[1,1,1,1] row_mask:0xf bank_mask:0xf// 00000001ADA8: 0B3B3AFA FF0055FB
	v_mul_f32_dpp v158, v251, v158 quad_perm:[2,2,2,2] row_mask:0xf bank_mask:0xf// 00000001ADB0: 0B3D3CFA FF00AAFB
	v_mul_f32_dpp v159, v251, v159 quad_perm:[3,3,3,3] row_mask:0xf bank_mask:0xf// 00000001ADB8: 0B3F3EFA FF00FFFB
	v_mov_b32_e32 v48, v144                                    // 00000001ADC0: 7E600390
	v_max3_f32 v48, v144, v145, v48                            // 00000001ADC4: D1D30030 04C32390
	v_max3_f32 v48, v146, v147, v48                            // 00000001ADCC: D1D30030 04C32792
	v_max3_f32 v48, v148, v149, v48                            // 00000001ADD4: D1D30030 04C32B94
	v_max3_f32 v48, v150, v151, v48                            // 00000001ADDC: D1D30030 04C32F96
	v_max3_f32 v48, v152, v153, v48                            // 00000001ADE4: D1D30030 04C33398
	v_max3_f32 v48, v154, v155, v48                            // 00000001ADEC: D1D30030 04C3379A
	v_max3_f32 v48, v156, v157, v48                            // 00000001ADF4: D1D30030 04C33B9C
	v_max3_f32 v48, v158, v159, v48                            // 00000001ADFC: D1D30030 04C33F9E
	ds_write_b32 v8, v48 offset:16896                          // 00000001AE04: D81A4200 00003008
	v_mul_f32_e32 v224, v51, v224                              // 00000001AE0C: 0BC1C133
	v_mul_f32_e32 v225, v51, v225                              // 00000001AE10: 0BC3C333
	v_mul_f32_e32 v226, v51, v226                              // 00000001AE14: 0BC5C533
	v_mul_f32_e32 v227, v51, v227                              // 00000001AE18: 0BC7C733
	v_mul_f32_e32 v228, v51, v228                              // 00000001AE1C: 0BC9C933
	v_mul_f32_e32 v229, v51, v229                              // 00000001AE20: 0BCBCB33
	v_mul_f32_e32 v230, v51, v230                              // 00000001AE24: 0BCDCD33
	v_mul_f32_e32 v231, v51, v231                              // 00000001AE28: 0BCFCF33
	s_waitcnt lgkmcnt(0)                                       // 00000001AE2C: BF8CC07F
	s_barrier                                                  // 00000001AE30: BF8A0000
	ds_read_b32 v64, v7 offset:16896                           // 00000001AE34: D86C4200 40000007
	ds_read_b32 v65, v7 offset:16960                           // 00000001AE3C: D86C4240 41000007
	ds_read_b32 v66, v7 offset:17024                           // 00000001AE44: D86C4280 42000007
	ds_read_b32 v67, v7 offset:17088                           // 00000001AE4C: D86C42C0 43000007
	ds_read_b32 v68, v7 offset:17152                           // 00000001AE54: D86C4300 44000007
	ds_read_b32 v69, v7 offset:17216                           // 00000001AE5C: D86C4340 45000007
	ds_read_b32 v70, v7 offset:17280                           // 00000001AE64: D86C4380 46000007
	ds_read_b32 v71, v7 offset:17344                           // 00000001AE6C: D86C43C0 47000007
	ds_read_b32 v72, v7 offset:17408                           // 00000001AE74: D86C4400 48000007
	ds_read_b32 v73, v7 offset:17472                           // 00000001AE7C: D86C4440 49000007
	ds_read_b32 v74, v7 offset:17536                           // 00000001AE84: D86C4480 4A000007
	ds_read_b32 v75, v7 offset:17600                           // 00000001AE8C: D86C44C0 4B000007
	ds_read_b32 v76, v7 offset:17664                           // 00000001AE94: D86C4500 4C000007
	ds_read_b32 v77, v7 offset:17728                           // 00000001AE9C: D86C4540 4D000007
	ds_read_b32 v78, v7 offset:17792                           // 00000001AEA4: D86C4580 4E000007
	ds_read_b32 v79, v7 offset:17856                           // 00000001AEAC: D86C45C0 4F000007
	v_mul_f32_e32 v192, v46, v192                              // 00000001AEB4: 0B81812E
	v_mul_f32_e32 v193, v46, v193                              // 00000001AEB8: 0B83832E
	v_mul_f32_e32 v194, v46, v194                              // 00000001AEBC: 0B85852E
	v_mul_f32_e32 v195, v46, v195                              // 00000001AEC0: 0B87872E
	v_mul_f32_e32 v196, v46, v196                              // 00000001AEC4: 0B89892E
	v_mul_f32_e32 v197, v46, v197                              // 00000001AEC8: 0B8B8B2E
	v_mul_f32_e32 v198, v46, v198                              // 00000001AECC: 0B8D8D2E
	v_mul_f32_e32 v199, v46, v199                              // 00000001AED0: 0B8F8F2E
	s_waitcnt lgkmcnt(0)                                       // 00000001AED4: BF8CC07F
	v_max3_f32 v48, v64, v65, v48                              // 00000001AED8: D1D30030 04C28340
	v_max3_f32 v48, v66, v67, v48                              // 00000001AEE0: D1D30030 04C28742
	v_max3_f32 v48, v68, v69, v48                              // 00000001AEE8: D1D30030 04C28B44
	v_max3_f32 v48, v70, v71, v48                              // 00000001AEF0: D1D30030 04C28F46
	v_max3_f32 v48, v72, v73, v48                              // 00000001AEF8: D1D30030 04C29348
	v_max3_f32 v48, v74, v75, v48                              // 00000001AF00: D1D30030 04C2974A
	v_max3_f32 v48, v76, v77, v48                              // 00000001AF08: D1D30030 04C29B4C
	v_max3_f32 v48, v78, v79, v48                              // 00000001AF10: D1D30030 04C29F4E
	v_mov_b32_e32 v64, 0xff800000                              // 00000001AF18: 7E8002FF FF800000
	v_cmp_eq_u32_e64 s[40:41], v64, v13                        // 00000001AF20: D0CA0028 00021B40
	s_nop 1                                                    // 00000001AF28: BF800001
	v_max_f32_e32 v15, v48, v13                                // 00000001AF2C: 161E1B30
	v_mul_f32_e32 v53, s64, v15                                // 00000001AF30: 0A6A1E40
	v_fma_f32 v144, v144, s64, -v53                            // 00000001AF34: D1CB0090 84D48190
	v_fma_f32 v145, v145, s64, -v53                            // 00000001AF3C: D1CB0091 84D48191
	v_fma_f32 v146, v146, s64, -v53                            // 00000001AF44: D1CB0092 84D48192
	v_fma_f32 v147, v147, s64, -v53                            // 00000001AF4C: D1CB0093 84D48193
	v_fma_f32 v148, v148, s64, -v53                            // 00000001AF54: D1CB0094 84D48194
	v_fma_f32 v149, v149, s64, -v53                            // 00000001AF5C: D1CB0095 84D48195
	v_fma_f32 v150, v150, s64, -v53                            // 00000001AF64: D1CB0096 84D48196
	v_fma_f32 v151, v151, s64, -v53                            // 00000001AF6C: D1CB0097 84D48197
	v_fma_f32 v152, v152, s64, -v53                            // 00000001AF74: D1CB0098 84D48198
	v_fma_f32 v153, v153, s64, -v53                            // 00000001AF7C: D1CB0099 84D48199
	v_fma_f32 v154, v154, s64, -v53                            // 00000001AF84: D1CB009A 84D4819A
	v_fma_f32 v155, v155, s64, -v53                            // 00000001AF8C: D1CB009B 84D4819B
	v_fma_f32 v156, v156, s64, -v53                            // 00000001AF94: D1CB009C 84D4819C
	v_fma_f32 v157, v157, s64, -v53                            // 00000001AF9C: D1CB009D 84D4819D
	v_fma_f32 v158, v158, s64, -v53                            // 00000001AFA4: D1CB009E 84D4819E
	v_fma_f32 v159, v159, s64, -v53                            // 00000001AFAC: D1CB009F 84D4819F
	v_exp_f32_e32 v144, v144                                   // 00000001AFB4: 7F204190
	v_exp_f32_e32 v145, v145                                   // 00000001AFB8: 7F224191
	v_exp_f32_e32 v146, v146                                   // 00000001AFBC: 7F244192
	v_exp_f32_e32 v147, v147                                   // 00000001AFC0: 7F264193
	v_exp_f32_e32 v148, v148                                   // 00000001AFC4: 7F284194
	v_exp_f32_e32 v149, v149                                   // 00000001AFC8: 7F2A4195
	v_exp_f32_e32 v150, v150                                   // 00000001AFCC: 7F2C4196
	v_exp_f32_e32 v151, v151                                   // 00000001AFD0: 7F2E4197
	v_exp_f32_e32 v152, v152                                   // 00000001AFD4: 7F304198
	v_exp_f32_e32 v153, v153                                   // 00000001AFD8: 7F324199
	v_exp_f32_e32 v154, v154                                   // 00000001AFDC: 7F34419A
	v_exp_f32_e32 v155, v155                                   // 00000001AFE0: 7F36419B
	v_exp_f32_e32 v156, v156                                   // 00000001AFE4: 7F38419C
	v_exp_f32_e32 v157, v157                                   // 00000001AFE8: 7F3A419D
	v_exp_f32_e32 v158, v158                                   // 00000001AFEC: 7F3C419E
	v_exp_f32_e32 v159, v159                                   // 00000001AFF0: 7F3E419F
	v_mul_f32_dpp v240, v252, v144 quad_perm:[0,0,0,0] row_mask:0xf bank_mask:0xf// 00000001AFF4: 0BE120FA FF0000FC
	v_mul_f32_dpp v241, v252, v145 quad_perm:[1,1,1,1] row_mask:0xf bank_mask:0xf// 00000001AFFC: 0BE322FA FF0055FC
	v_mul_f32_dpp v242, v252, v146 quad_perm:[2,2,2,2] row_mask:0xf bank_mask:0xf// 00000001B004: 0BE524FA FF00AAFC
	v_mul_f32_dpp v243, v252, v147 quad_perm:[3,3,3,3] row_mask:0xf bank_mask:0xf// 00000001B00C: 0BE726FA FF00FFFC
	v_mul_f32_dpp v244, v253, v148 quad_perm:[0,0,0,0] row_mask:0xf bank_mask:0xf// 00000001B014: 0BE928FA FF0000FD
	v_mul_f32_dpp v245, v253, v149 quad_perm:[1,1,1,1] row_mask:0xf bank_mask:0xf// 00000001B01C: 0BEB2AFA FF0055FD
	v_mul_f32_dpp v246, v253, v150 quad_perm:[2,2,2,2] row_mask:0xf bank_mask:0xf// 00000001B024: 0BED2CFA FF00AAFD
	v_mul_f32_dpp v247, v253, v151 quad_perm:[3,3,3,3] row_mask:0xf bank_mask:0xf// 00000001B02C: 0BEF2EFA FF00FFFD
	v_mul_f32_dpp v248, v254, v152 quad_perm:[0,0,0,0] row_mask:0xf bank_mask:0xf// 00000001B034: 0BF130FA FF0000FE
	v_mul_f32_dpp v249, v254, v153 quad_perm:[1,1,1,1] row_mask:0xf bank_mask:0xf// 00000001B03C: 0BF332FA FF0055FE
	v_mul_f32_dpp v250, v254, v154 quad_perm:[2,2,2,2] row_mask:0xf bank_mask:0xf// 00000001B044: 0BF534FA FF00AAFE
	v_mul_f32_dpp v251, v254, v155 quad_perm:[3,3,3,3] row_mask:0xf bank_mask:0xf// 00000001B04C: 0BF736FA FF00FFFE
	v_mul_f32_dpp v252, v255, v156 quad_perm:[0,0,0,0] row_mask:0xf bank_mask:0xf// 00000001B054: 0BF938FA FF0000FF
	v_mul_f32_dpp v253, v255, v157 quad_perm:[1,1,1,1] row_mask:0xf bank_mask:0xf// 00000001B05C: 0BFB3AFA FF0055FF
	v_mul_f32_dpp v254, v255, v158 quad_perm:[2,2,2,2] row_mask:0xf bank_mask:0xf// 00000001B064: 0BFD3CFA FF00AAFF
	v_mul_f32_dpp v255, v255, v159 quad_perm:[3,3,3,3] row_mask:0xf bank_mask:0xf// 00000001B06C: 0BFF3EFA FF00FFFF
	v_mov_b32_e32 v48, 0x358637bd                              // 00000001B074: 7E6002FF 358637BD
	v_max3_f32 v48, |v240|, |v241|, v48                        // 00000001B07C: D1D30330 04C3E3F0
	v_max3_f32 v48, |v242|, |v243|, v48                        // 00000001B084: D1D30330 04C3E7F2
	v_max3_f32 v48, |v244|, |v245|, v48                        // 00000001B08C: D1D30330 04C3EBF4
	v_max3_f32 v48, |v246|, |v247|, v48                        // 00000001B094: D1D30330 04C3EFF6
	v_max3_f32 v48, |v248|, |v249|, v48                        // 00000001B09C: D1D30330 04C3F3F8
	v_max3_f32 v48, |v250|, |v251|, v48                        // 00000001B0A4: D1D30330 04C3F7FA
	v_max3_f32 v48, |v252|, |v253|, v48                        // 00000001B0AC: D1D30330 04C3FBFC
	v_max3_f32 v48, |v254|, |v255|, v48                        // 00000001B0B4: D1D30330 04C3FFFE
	ds_write_b32 v8, v48 offset:20992                          // 00000001B0BC: D81A5200 00003008
	v_sub_f32_e32 v51, v13, v15                                // 00000001B0C4: 04661F0D
	v_cndmask_b32_e64 v51, v51, 0, s[40:41]                    // 00000001B0C8: D1000033 00A10133
	v_mov_b32_e32 v13, v15                                     // 00000001B0D0: 7E1A030F
	v_mul_f32_e32 v51, s64, v51                                // 00000001B0D4: 0A666640
	v_exp_f32_e32 v51, v51                                     // 00000001B0D8: 7E664133
	s_waitcnt lgkmcnt(0)                                       // 00000001B0DC: BF8CC07F
	s_barrier                                                  // 00000001B0E0: BF8A0000
	ds_read_b32 v64, v7 offset:20992                           // 00000001B0E4: D86C5200 40000007
	ds_read_b32 v65, v7 offset:21056                           // 00000001B0EC: D86C5240 41000007
	ds_read_b32 v66, v7 offset:21120                           // 00000001B0F4: D86C5280 42000007
	ds_read_b32 v67, v7 offset:21184                           // 00000001B0FC: D86C52C0 43000007
	ds_read_b32 v68, v7 offset:21248                           // 00000001B104: D86C5300 44000007
	ds_read_b32 v69, v7 offset:21312                           // 00000001B10C: D86C5340 45000007
	ds_read_b32 v70, v7 offset:21376                           // 00000001B114: D86C5380 46000007
	ds_read_b32 v71, v7 offset:21440                           // 00000001B11C: D86C53C0 47000007
	ds_read_b32 v72, v7 offset:21504                           // 00000001B124: D86C5400 48000007
	ds_read_b32 v73, v7 offset:21568                           // 00000001B12C: D86C5440 49000007
	ds_read_b32 v74, v7 offset:21632                           // 00000001B134: D86C5480 4A000007
	ds_read_b32 v75, v7 offset:21696                           // 00000001B13C: D86C54C0 4B000007
	ds_read_b32 v76, v7 offset:21760                           // 00000001B144: D86C5500 4C000007
	ds_read_b32 v77, v7 offset:21824                           // 00000001B14C: D86C5540 4D000007
	ds_read_b32 v78, v7 offset:21888                           // 00000001B154: D86C5580 4E000007
	ds_read_b32 v79, v7 offset:21952                           // 00000001B15C: D86C55C0 4F000007
	v_mul_f32_e32 v40, v51, v40                                // 00000001B164: 0A505133
	v_mov_b32_e32 v15, v144                                    // 00000001B168: 7E1E0390
	v_add_f32_e32 v15, v145, v15                               // 00000001B16C: 021E1F91
	v_add_f32_e32 v15, v146, v15                               // 00000001B170: 021E1F92
	v_add_f32_e32 v15, v147, v15                               // 00000001B174: 021E1F93
	v_add_f32_e32 v15, v148, v15                               // 00000001B178: 021E1F94
	v_add_f32_e32 v15, v149, v15                               // 00000001B17C: 021E1F95
	v_add_f32_e32 v15, v150, v15                               // 00000001B180: 021E1F96
	v_add_f32_e32 v15, v151, v15                               // 00000001B184: 021E1F97
	v_add_f32_e32 v15, v152, v15                               // 00000001B188: 021E1F98
	v_add_f32_e32 v15, v153, v15                               // 00000001B18C: 021E1F99
	v_add_f32_e32 v15, v154, v15                               // 00000001B190: 021E1F9A
	v_add_f32_e32 v15, v155, v15                               // 00000001B194: 021E1F9B
	v_add_f32_e32 v15, v156, v15                               // 00000001B198: 021E1F9C
	v_add_f32_e32 v15, v157, v15                               // 00000001B19C: 021E1F9D
	v_add_f32_e32 v15, v158, v15                               // 00000001B1A0: 021E1F9E
	v_add_f32_e32 v15, v159, v15                               // 00000001B1A4: 021E1F9F
	v_add_f32_e32 v40, v15, v40                                // 00000001B1A8: 0250510F
	s_waitcnt lgkmcnt(0)                                       // 00000001B1AC: BF8CC07F
	v_max3_f32 v48, |v64|, |v65|, v48                          // 00000001B1B0: D1D30330 04C28340
	v_max3_f32 v48, |v66|, |v67|, v48                          // 00000001B1B8: D1D30330 04C28742
	v_max3_f32 v48, |v68|, |v69|, v48                          // 00000001B1C0: D1D30330 04C28B44
	v_max3_f32 v48, |v70|, |v71|, v48                          // 00000001B1C8: D1D30330 04C28F46
	v_max3_f32 v48, |v72|, |v73|, v48                          // 00000001B1D0: D1D30330 04C29348
	v_max3_f32 v48, |v74|, |v75|, v48                          // 00000001B1D8: D1D30330 04C2974A
	v_max3_f32 v48, |v76|, |v77|, v48                          // 00000001B1E0: D1D30330 04C29B4C
	v_max3_f32 v48, |v78|, |v79|, v48                          // 00000001B1E8: D1D30330 04C29F4E
	s_nop 2                                                    // 00000001B1F0: BF800002
	v_rcp_f32_e32 v48, v48                                     // 00000001B1F4: 7E604530
	s_nop 1                                                    // 00000001B1F8: BF800001
	v_mul_f32_e32 v48, 0x43e00000, v48                         // 00000001B1FC: 0A6060FF 43E00000
	v_mul_f32_e32 v144, v48, v240                              // 00000001B204: 0B21E130
	v_mul_f32_e32 v145, v48, v241                              // 00000001B208: 0B23E330
	v_mul_f32_e32 v146, v48, v242                              // 00000001B20C: 0B25E530
	v_mul_f32_e32 v147, v48, v243                              // 00000001B210: 0B27E730
	v_mul_f32_e32 v148, v48, v244                              // 00000001B214: 0B29E930
	v_mul_f32_e32 v149, v48, v245                              // 00000001B218: 0B2BEB30
	v_mul_f32_e32 v150, v48, v246                              // 00000001B21C: 0B2DED30
	v_mul_f32_e32 v151, v48, v247                              // 00000001B220: 0B2FEF30
	v_mul_f32_e32 v152, v48, v248                              // 00000001B224: 0B31F130
	v_mul_f32_e32 v153, v48, v249                              // 00000001B228: 0B33F330
	v_mul_f32_e32 v154, v48, v250                              // 00000001B22C: 0B35F530
	v_mul_f32_e32 v155, v48, v251                              // 00000001B230: 0B37F730
	v_mul_f32_e32 v156, v48, v252                              // 00000001B234: 0B39F930
	v_mul_f32_e32 v157, v48, v253                              // 00000001B238: 0B3BFB30
	v_mul_f32_e32 v158, v48, v254                              // 00000001B23C: 0B3DFD30
	v_mul_f32_e32 v159, v48, v255                              // 00000001B240: 0B3FFF30
	v_cvt_pk_fp8_f32 v144, v144, v145                          // 00000001B244: D2A20090 00032390
	v_cvt_pk_fp8_f32 v144, v146, v147 op_sel:[0,0,1]           // 00000001B24C: D2A24090 00032792
	v_cvt_pk_fp8_f32 v145, v148, v149                          // 00000001B254: D2A20091 00032B94
	v_cvt_pk_fp8_f32 v145, v150, v151 op_sel:[0,0,1]           // 00000001B25C: D2A24091 00032F96
	v_cvt_pk_fp8_f32 v146, v152, v153                          // 00000001B264: D2A20092 00033398
	v_cvt_pk_fp8_f32 v146, v154, v155 op_sel:[0,0,1]           // 00000001B26C: D2A24092 0003379A
	v_cvt_pk_fp8_f32 v147, v156, v157                          // 00000001B274: D2A20093 00033B9C
	v_cvt_pk_fp8_f32 v147, v158, v159 op_sel:[0,0,1]           // 00000001B27C: D2A24093 00033F9E
	ds_write_b32 v10, v144 offset:33280                        // 00000001B284: D81A8200 0000900A
	ds_write_b32 v10, v145 offset:34304                        // 00000001B28C: D81A8600 0000910A
	ds_write_b32 v10, v146 offset:35328                        // 00000001B294: D81A8A00 0000920A
	ds_write_b32 v10, v147 offset:36352                        // 00000001B29C: D81A8E00 0000930A
	v_add_f32_e32 v224, v224, v192                             // 00000001B2A4: 03C181E0
	v_add_f32_e32 v225, v225, v193                             // 00000001B2A8: 03C383E1
	v_add_f32_e32 v226, v226, v194                             // 00000001B2AC: 03C585E2
	v_add_f32_e32 v227, v227, v195                             // 00000001B2B0: 03C787E3
	v_add_f32_e32 v228, v228, v196                             // 00000001B2B4: 03C989E4
	v_add_f32_e32 v229, v229, v197                             // 00000001B2B8: 03CB8BE5
	v_add_f32_e32 v230, v230, v198                             // 00000001B2BC: 03CD8DE6
	v_add_f32_e32 v231, v231, v199                             // 00000001B2C0: 03CF8FE7
	v_rcp_f32_e32 v46, v48                                     // 00000001B2C4: 7E5C4530
	s_waitcnt lgkmcnt(0)                                       // 00000001B2C8: BF8CC07F
	s_barrier                                                  // 00000001B2CC: BF8A0000
	ds_read_b64 v[144:145], v9 offset:33280                    // 00000001B2D0: D8EC8200 90000009
	ds_read_b64 v[146:147], v9 offset:33408                    // 00000001B2D8: D8EC8280 92000009
	ds_read_b64 v[148:149], v9 offset:34304                    // 00000001B2E0: D8EC8600 94000009
	ds_read_b64 v[150:151], v9 offset:34432                    // 00000001B2E8: D8EC8680 96000009
	ds_read_b64 v[152:153], v9 offset:35328                    // 00000001B2F0: D8EC8A00 98000009
	ds_read_b64 v[154:155], v9 offset:35456                    // 00000001B2F8: D8EC8A80 9A000009
	ds_read_b64 v[156:157], v9 offset:36352                    // 00000001B300: D8EC8E00 9C000009
	ds_read_b64 v[158:159], v9 offset:36480                    // 00000001B308: D8EC8E80 9E000009
	v_mov_b32_dpp v64, v42 row_shr:4 row_mask:0xf bank_mask:0xf// 00000001B310: 7E8002FA FF01142A
	v_mov_b32_dpp v65, v42 row_shl:4 row_mask:0xf bank_mask:0xf// 00000001B318: 7E8202FA FF01042A
	v_cndmask_b32_e64 v248, v42, v64, s[44:45]                 // 00000001B320: D10000F8 00B2812A
	v_cndmask_b32_e64 v249, v65, v42, s[44:45]                 // 00000001B328: D10000F9 00B25541
	v_mov_b32_dpp v64, v248 row_shr:8 row_mask:0xf bank_mask:0xf// 00000001B330: 7E8002FA FF0118F8
	v_mov_b32_dpp v65, v248 row_shl:8 row_mask:0xf bank_mask:0xf// 00000001B338: 7E8202FA FF0108F8
	v_mov_b32_dpp v66, v249 row_shr:8 row_mask:0xf bank_mask:0xf// 00000001B340: 7E8402FA FF0118F9
	v_mov_b32_dpp v67, v249 row_shl:8 row_mask:0xf bank_mask:0xf// 00000001B348: 7E8602FA FF0108F9
	v_mov_b32_e32 v68, v248                                    // 00000001B350: 7E8803F8
	v_mov_b32_e32 v69, v249                                    // 00000001B354: 7E8A03F9
	v_cndmask_b32_e64 v248, v68, v64, s[42:43]                 // 00000001B358: D10000F8 00AA8144
	v_cndmask_b32_e64 v250, v68, v65, s[78:79]                 // 00000001B360: D10000FA 013A8344
	v_cndmask_b32_e64 v249, v69, v66, s[42:43]                 // 00000001B368: D10000F9 00AA8545
	v_cndmask_b32_e64 v251, v69, v67, s[78:79]                 // 00000001B370: D10000FB 013A8745
	v_mov_b32_dpp v64, v57 row_shr:4 row_mask:0xf bank_mask:0xf// 00000001B378: 7E8002FA FF011439
	v_mov_b32_dpp v65, v57 row_shl:4 row_mask:0xf bank_mask:0xf// 00000001B380: 7E8202FA FF010439
	v_cndmask_b32_e64 v252, v57, v64, s[44:45]                 // 00000001B388: D10000FC 00B28139
	v_cndmask_b32_e64 v253, v65, v57, s[44:45]                 // 00000001B390: D10000FD 00B27341
	v_mov_b32_dpp v64, v252 row_shr:8 row_mask:0xf bank_mask:0xf// 00000001B398: 7E8002FA FF0118FC
	v_mov_b32_dpp v65, v252 row_shl:8 row_mask:0xf bank_mask:0xf// 00000001B3A0: 7E8202FA FF0108FC
	v_mov_b32_dpp v66, v253 row_shr:8 row_mask:0xf bank_mask:0xf// 00000001B3A8: 7E8402FA FF0118FD
	v_mov_b32_dpp v67, v253 row_shl:8 row_mask:0xf bank_mask:0xf// 00000001B3B0: 7E8602FA FF0108FD
	v_mov_b32_e32 v68, v252                                    // 00000001B3B8: 7E8803FC
	v_mov_b32_e32 v69, v253                                    // 00000001B3BC: 7E8A03FD
	v_cndmask_b32_e64 v252, v68, v64, s[42:43]                 // 00000001B3C0: D10000FC 00AA8144
	v_cndmask_b32_e64 v254, v68, v65, s[78:79]                 // 00000001B3C8: D10000FE 013A8344
	v_cndmask_b32_e64 v253, v69, v66, s[42:43]                 // 00000001B3D0: D10000FD 00AA8545
	v_cndmask_b32_e64 v255, v69, v67, s[78:79]                 // 00000001B3D8: D10000FF 013A8745
	v_mul_f32_e32 v160, v21, v160                              // 00000001B3E0: 0B414115
	v_mul_f32_e32 v161, v21, v161                              // 00000001B3E4: 0B434315
	v_mul_f32_e32 v162, v21, v162                              // 00000001B3E8: 0B454515
	v_mul_f32_e32 v163, v21, v163                              // 00000001B3EC: 0B474715
	v_mul_f32_e32 v164, v21, v164                              // 00000001B3F0: 0B494915
	v_mul_f32_e32 v165, v21, v165                              // 00000001B3F4: 0B4B4B15
	v_mul_f32_e32 v166, v21, v166                              // 00000001B3F8: 0B4D4D15
	v_mul_f32_e32 v167, v21, v167                              // 00000001B3FC: 0B4F4F15
	v_mul_f32_e32 v168, v21, v168                              // 00000001B400: 0B515115
	v_mul_f32_e32 v169, v21, v169                              // 00000001B404: 0B535315
	v_mul_f32_e32 v170, v21, v170                              // 00000001B408: 0B555515
	v_mul_f32_e32 v171, v21, v171                              // 00000001B40C: 0B575715
	v_mul_f32_e32 v172, v21, v172                              // 00000001B410: 0B595915
	v_mul_f32_e32 v173, v21, v173                              // 00000001B414: 0B5B5B15
	v_mul_f32_e32 v174, v21, v174                              // 00000001B418: 0B5D5D15
	v_mul_f32_e32 v175, v21, v175                              // 00000001B41C: 0B5F5F15
	v_mul_f32_dpp v160, v248, v160 quad_perm:[0,0,0,0] row_mask:0xf bank_mask:0xf// 00000001B420: 0B4140FA FF0000F8
	v_mul_f32_dpp v161, v248, v161 quad_perm:[1,1,1,1] row_mask:0xf bank_mask:0xf// 00000001B428: 0B4342FA FF0055F8
	v_mul_f32_dpp v162, v248, v162 quad_perm:[2,2,2,2] row_mask:0xf bank_mask:0xf// 00000001B430: 0B4544FA FF00AAF8
	v_mul_f32_dpp v163, v248, v163 quad_perm:[3,3,3,3] row_mask:0xf bank_mask:0xf// 00000001B438: 0B4746FA FF00FFF8
	v_mul_f32_dpp v164, v249, v164 quad_perm:[0,0,0,0] row_mask:0xf bank_mask:0xf// 00000001B440: 0B4948FA FF0000F9
	v_mul_f32_dpp v165, v249, v165 quad_perm:[1,1,1,1] row_mask:0xf bank_mask:0xf// 00000001B448: 0B4B4AFA FF0055F9
	v_mul_f32_dpp v166, v249, v166 quad_perm:[2,2,2,2] row_mask:0xf bank_mask:0xf// 00000001B450: 0B4D4CFA FF00AAF9
	v_mul_f32_dpp v167, v249, v167 quad_perm:[3,3,3,3] row_mask:0xf bank_mask:0xf// 00000001B458: 0B4F4EFA FF00FFF9
	v_mul_f32_dpp v168, v250, v168 quad_perm:[0,0,0,0] row_mask:0xf bank_mask:0xf// 00000001B460: 0B5150FA FF0000FA
	v_mul_f32_dpp v169, v250, v169 quad_perm:[1,1,1,1] row_mask:0xf bank_mask:0xf// 00000001B468: 0B5352FA FF0055FA
	v_mul_f32_dpp v170, v250, v170 quad_perm:[2,2,2,2] row_mask:0xf bank_mask:0xf// 00000001B470: 0B5554FA FF00AAFA
	v_mul_f32_dpp v171, v250, v171 quad_perm:[3,3,3,3] row_mask:0xf bank_mask:0xf// 00000001B478: 0B5756FA FF00FFFA
	v_mul_f32_dpp v172, v251, v172 quad_perm:[0,0,0,0] row_mask:0xf bank_mask:0xf// 00000001B480: 0B5958FA FF0000FB
	v_mul_f32_dpp v173, v251, v173 quad_perm:[1,1,1,1] row_mask:0xf bank_mask:0xf// 00000001B488: 0B5B5AFA FF0055FB
	v_mul_f32_dpp v174, v251, v174 quad_perm:[2,2,2,2] row_mask:0xf bank_mask:0xf// 00000001B490: 0B5D5CFA FF00AAFB
	v_mul_f32_dpp v175, v251, v175 quad_perm:[3,3,3,3] row_mask:0xf bank_mask:0xf// 00000001B498: 0B5F5EFA FF00FFFB
	v_mov_b32_e32 v48, v160                                    // 00000001B4A0: 7E6003A0
	v_max3_f32 v48, v160, v161, v48                            // 00000001B4A4: D1D30030 04C343A0
	v_max3_f32 v48, v162, v163, v48                            // 00000001B4AC: D1D30030 04C347A2
	v_max3_f32 v48, v164, v165, v48                            // 00000001B4B4: D1D30030 04C34BA4
	v_max3_f32 v48, v166, v167, v48                            // 00000001B4BC: D1D30030 04C34FA6
	v_max3_f32 v48, v168, v169, v48                            // 00000001B4C4: D1D30030 04C353A8
	v_max3_f32 v48, v170, v171, v48                            // 00000001B4CC: D1D30030 04C357AA
	v_max3_f32 v48, v172, v173, v48                            // 00000001B4D4: D1D30030 04C35BAC
	v_max3_f32 v48, v174, v175, v48                            // 00000001B4DC: D1D30030 04C35FAE
	ds_write_b32 v8, v48 offset:16896                          // 00000001B4E4: D81A4200 00003008
	v_mul_f32_e32 v232, v52, v232                              // 00000001B4EC: 0BD1D134
	v_mul_f32_e32 v233, v52, v233                              // 00000001B4F0: 0BD3D334
	v_mul_f32_e32 v234, v52, v234                              // 00000001B4F4: 0BD5D534
	v_mul_f32_e32 v235, v52, v235                              // 00000001B4F8: 0BD7D734
	v_mul_f32_e32 v236, v52, v236                              // 00000001B4FC: 0BD9D934
	v_mul_f32_e32 v237, v52, v237                              // 00000001B500: 0BDBDB34
	v_mul_f32_e32 v238, v52, v238                              // 00000001B504: 0BDDDD34
	v_mul_f32_e32 v239, v52, v239                              // 00000001B508: 0BDFDF34
	s_waitcnt lgkmcnt(0)                                       // 00000001B50C: BF8CC07F
	s_barrier                                                  // 00000001B510: BF8A0000
	ds_read_b32 v64, v7 offset:16896                           // 00000001B514: D86C4200 40000007
	ds_read_b32 v65, v7 offset:16960                           // 00000001B51C: D86C4240 41000007
	ds_read_b32 v66, v7 offset:17024                           // 00000001B524: D86C4280 42000007
	ds_read_b32 v67, v7 offset:17088                           // 00000001B52C: D86C42C0 43000007
	ds_read_b32 v68, v7 offset:17152                           // 00000001B534: D86C4300 44000007
	ds_read_b32 v69, v7 offset:17216                           // 00000001B53C: D86C4340 45000007
	ds_read_b32 v70, v7 offset:17280                           // 00000001B544: D86C4380 46000007
	ds_read_b32 v71, v7 offset:17344                           // 00000001B54C: D86C43C0 47000007
	ds_read_b32 v72, v7 offset:17408                           // 00000001B554: D86C4400 48000007
	ds_read_b32 v73, v7 offset:17472                           // 00000001B55C: D86C4440 49000007
	ds_read_b32 v74, v7 offset:17536                           // 00000001B564: D86C4480 4A000007
	ds_read_b32 v75, v7 offset:17600                           // 00000001B56C: D86C44C0 4B000007
	ds_read_b32 v76, v7 offset:17664                           // 00000001B574: D86C4500 4C000007
	ds_read_b32 v77, v7 offset:17728                           // 00000001B57C: D86C4540 4D000007
	ds_read_b32 v78, v7 offset:17792                           // 00000001B584: D86C4580 4E000007
	ds_read_b32 v79, v7 offset:17856                           // 00000001B58C: D86C45C0 4F000007
	v_mul_f32_e32 v200, v47, v200                              // 00000001B594: 0B91912F
	v_mul_f32_e32 v201, v47, v201                              // 00000001B598: 0B93932F
	v_mul_f32_e32 v202, v47, v202                              // 00000001B59C: 0B95952F
	v_mul_f32_e32 v203, v47, v203                              // 00000001B5A0: 0B97972F
	v_mul_f32_e32 v204, v47, v204                              // 00000001B5A4: 0B99992F
	v_mul_f32_e32 v205, v47, v205                              // 00000001B5A8: 0B9B9B2F
	v_mul_f32_e32 v206, v47, v206                              // 00000001B5AC: 0B9D9D2F
	v_mul_f32_e32 v207, v47, v207                              // 00000001B5B0: 0B9F9F2F
	s_waitcnt lgkmcnt(0)                                       // 00000001B5B4: BF8CC07F
	v_max3_f32 v48, v64, v65, v48                              // 00000001B5B8: D1D30030 04C28340
	v_max3_f32 v48, v66, v67, v48                              // 00000001B5C0: D1D30030 04C28742
	v_max3_f32 v48, v68, v69, v48                              // 00000001B5C8: D1D30030 04C28B44
	v_max3_f32 v48, v70, v71, v48                              // 00000001B5D0: D1D30030 04C28F46
	v_max3_f32 v48, v72, v73, v48                              // 00000001B5D8: D1D30030 04C29348
	v_max3_f32 v48, v74, v75, v48                              // 00000001B5E0: D1D30030 04C2974A
	v_max3_f32 v48, v76, v77, v48                              // 00000001B5E8: D1D30030 04C29B4C
	v_max3_f32 v48, v78, v79, v48                              // 00000001B5F0: D1D30030 04C29F4E
	v_mov_b32_e32 v64, 0xff800000                              // 00000001B5F8: 7E8002FF FF800000
	v_cmp_eq_u32_e64 s[40:41], v64, v14                        // 00000001B600: D0CA0028 00021D40
	s_nop 1                                                    // 00000001B608: BF800001
	v_max_f32_e32 v15, v48, v14                                // 00000001B60C: 161E1D30
	v_mul_f32_e32 v53, s64, v15                                // 00000001B610: 0A6A1E40
	v_fma_f32 v160, v160, s64, -v53                            // 00000001B614: D1CB00A0 84D481A0
	v_fma_f32 v161, v161, s64, -v53                            // 00000001B61C: D1CB00A1 84D481A1
	v_fma_f32 v162, v162, s64, -v53                            // 00000001B624: D1CB00A2 84D481A2
	v_fma_f32 v163, v163, s64, -v53                            // 00000001B62C: D1CB00A3 84D481A3
	v_fma_f32 v164, v164, s64, -v53                            // 00000001B634: D1CB00A4 84D481A4
	v_fma_f32 v165, v165, s64, -v53                            // 00000001B63C: D1CB00A5 84D481A5
	v_fma_f32 v166, v166, s64, -v53                            // 00000001B644: D1CB00A6 84D481A6
	v_fma_f32 v167, v167, s64, -v53                            // 00000001B64C: D1CB00A7 84D481A7
	v_fma_f32 v168, v168, s64, -v53                            // 00000001B654: D1CB00A8 84D481A8
	v_fma_f32 v169, v169, s64, -v53                            // 00000001B65C: D1CB00A9 84D481A9
	v_fma_f32 v170, v170, s64, -v53                            // 00000001B664: D1CB00AA 84D481AA
	v_fma_f32 v171, v171, s64, -v53                            // 00000001B66C: D1CB00AB 84D481AB
	v_fma_f32 v172, v172, s64, -v53                            // 00000001B674: D1CB00AC 84D481AC
	v_fma_f32 v173, v173, s64, -v53                            // 00000001B67C: D1CB00AD 84D481AD
	v_fma_f32 v174, v174, s64, -v53                            // 00000001B684: D1CB00AE 84D481AE
	v_fma_f32 v175, v175, s64, -v53                            // 00000001B68C: D1CB00AF 84D481AF
	v_exp_f32_e32 v160, v160                                   // 00000001B694: 7F4041A0
	v_exp_f32_e32 v161, v161                                   // 00000001B698: 7F4241A1
	v_exp_f32_e32 v162, v162                                   // 00000001B69C: 7F4441A2
	v_exp_f32_e32 v163, v163                                   // 00000001B6A0: 7F4641A3
	v_exp_f32_e32 v164, v164                                   // 00000001B6A4: 7F4841A4
	v_exp_f32_e32 v165, v165                                   // 00000001B6A8: 7F4A41A5
	v_exp_f32_e32 v166, v166                                   // 00000001B6AC: 7F4C41A6
	v_exp_f32_e32 v167, v167                                   // 00000001B6B0: 7F4E41A7
	v_exp_f32_e32 v168, v168                                   // 00000001B6B4: 7F5041A8
	v_exp_f32_e32 v169, v169                                   // 00000001B6B8: 7F5241A9
	v_exp_f32_e32 v170, v170                                   // 00000001B6BC: 7F5441AA
	v_exp_f32_e32 v171, v171                                   // 00000001B6C0: 7F5641AB
	v_exp_f32_e32 v172, v172                                   // 00000001B6C4: 7F5841AC
	v_exp_f32_e32 v173, v173                                   // 00000001B6C8: 7F5A41AD
	v_exp_f32_e32 v174, v174                                   // 00000001B6CC: 7F5C41AE
	v_exp_f32_e32 v175, v175                                   // 00000001B6D0: 7F5E41AF
	v_mul_f32_dpp v240, v252, v160 quad_perm:[0,0,0,0] row_mask:0xf bank_mask:0xf// 00000001B6D4: 0BE140FA FF0000FC
	v_mul_f32_dpp v241, v252, v161 quad_perm:[1,1,1,1] row_mask:0xf bank_mask:0xf// 00000001B6DC: 0BE342FA FF0055FC
	v_mul_f32_dpp v242, v252, v162 quad_perm:[2,2,2,2] row_mask:0xf bank_mask:0xf// 00000001B6E4: 0BE544FA FF00AAFC
	v_mul_f32_dpp v243, v252, v163 quad_perm:[3,3,3,3] row_mask:0xf bank_mask:0xf// 00000001B6EC: 0BE746FA FF00FFFC
	v_mul_f32_dpp v244, v253, v164 quad_perm:[0,0,0,0] row_mask:0xf bank_mask:0xf// 00000001B6F4: 0BE948FA FF0000FD
	v_mul_f32_dpp v245, v253, v165 quad_perm:[1,1,1,1] row_mask:0xf bank_mask:0xf// 00000001B6FC: 0BEB4AFA FF0055FD
	v_mul_f32_dpp v246, v253, v166 quad_perm:[2,2,2,2] row_mask:0xf bank_mask:0xf// 00000001B704: 0BED4CFA FF00AAFD
	v_mul_f32_dpp v247, v253, v167 quad_perm:[3,3,3,3] row_mask:0xf bank_mask:0xf// 00000001B70C: 0BEF4EFA FF00FFFD
	v_mul_f32_dpp v248, v254, v168 quad_perm:[0,0,0,0] row_mask:0xf bank_mask:0xf// 00000001B714: 0BF150FA FF0000FE
	v_mul_f32_dpp v249, v254, v169 quad_perm:[1,1,1,1] row_mask:0xf bank_mask:0xf// 00000001B71C: 0BF352FA FF0055FE
	v_mul_f32_dpp v250, v254, v170 quad_perm:[2,2,2,2] row_mask:0xf bank_mask:0xf// 00000001B724: 0BF554FA FF00AAFE
	v_mul_f32_dpp v251, v254, v171 quad_perm:[3,3,3,3] row_mask:0xf bank_mask:0xf// 00000001B72C: 0BF756FA FF00FFFE
	v_mul_f32_dpp v252, v255, v172 quad_perm:[0,0,0,0] row_mask:0xf bank_mask:0xf// 00000001B734: 0BF958FA FF0000FF
	v_mul_f32_dpp v253, v255, v173 quad_perm:[1,1,1,1] row_mask:0xf bank_mask:0xf// 00000001B73C: 0BFB5AFA FF0055FF
	v_mul_f32_dpp v254, v255, v174 quad_perm:[2,2,2,2] row_mask:0xf bank_mask:0xf// 00000001B744: 0BFD5CFA FF00AAFF
	v_mul_f32_dpp v255, v255, v175 quad_perm:[3,3,3,3] row_mask:0xf bank_mask:0xf// 00000001B74C: 0BFF5EFA FF00FFFF
	v_mov_b32_e32 v48, 0x358637bd                              // 00000001B754: 7E6002FF 358637BD
	v_max3_f32 v48, |v240|, |v241|, v48                        // 00000001B75C: D1D30330 04C3E3F0
	v_max3_f32 v48, |v242|, |v243|, v48                        // 00000001B764: D1D30330 04C3E7F2
	v_max3_f32 v48, |v244|, |v245|, v48                        // 00000001B76C: D1D30330 04C3EBF4
	v_max3_f32 v48, |v246|, |v247|, v48                        // 00000001B774: D1D30330 04C3EFF6
	v_max3_f32 v48, |v248|, |v249|, v48                        // 00000001B77C: D1D30330 04C3F3F8
	v_max3_f32 v48, |v250|, |v251|, v48                        // 00000001B784: D1D30330 04C3F7FA
	v_max3_f32 v48, |v252|, |v253|, v48                        // 00000001B78C: D1D30330 04C3FBFC
	v_max3_f32 v48, |v254|, |v255|, v48                        // 00000001B794: D1D30330 04C3FFFE
	ds_write_b32 v8, v48 offset:20992                          // 00000001B79C: D81A5200 00003008
	v_sub_f32_e32 v52, v14, v15                                // 00000001B7A4: 04681F0E
	v_cndmask_b32_e64 v52, v52, 0, s[40:41]                    // 00000001B7A8: D1000034 00A10134
	v_mov_b32_e32 v14, v15                                     // 00000001B7B0: 7E1C030F
	v_mul_f32_e32 v52, s64, v52                                // 00000001B7B4: 0A686840
	v_exp_f32_e32 v52, v52                                     // 00000001B7B8: 7E684134
	s_waitcnt lgkmcnt(0)                                       // 00000001B7BC: BF8CC07F
	s_barrier                                                  // 00000001B7C0: BF8A0000
	ds_read_b32 v64, v7 offset:20992                           // 00000001B7C4: D86C5200 40000007
	ds_read_b32 v65, v7 offset:21056                           // 00000001B7CC: D86C5240 41000007
	ds_read_b32 v66, v7 offset:21120                           // 00000001B7D4: D86C5280 42000007
	ds_read_b32 v67, v7 offset:21184                           // 00000001B7DC: D86C52C0 43000007
	ds_read_b32 v68, v7 offset:21248                           // 00000001B7E4: D86C5300 44000007
	ds_read_b32 v69, v7 offset:21312                           // 00000001B7EC: D86C5340 45000007
	ds_read_b32 v70, v7 offset:21376                           // 00000001B7F4: D86C5380 46000007
	ds_read_b32 v71, v7 offset:21440                           // 00000001B7FC: D86C53C0 47000007
	ds_read_b32 v72, v7 offset:21504                           // 00000001B804: D86C5400 48000007
	ds_read_b32 v73, v7 offset:21568                           // 00000001B80C: D86C5440 49000007
	ds_read_b32 v74, v7 offset:21632                           // 00000001B814: D86C5480 4A000007
	ds_read_b32 v75, v7 offset:21696                           // 00000001B81C: D86C54C0 4B000007
	ds_read_b32 v76, v7 offset:21760                           // 00000001B824: D86C5500 4C000007
	ds_read_b32 v77, v7 offset:21824                           // 00000001B82C: D86C5540 4D000007
	ds_read_b32 v78, v7 offset:21888                           // 00000001B834: D86C5580 4E000007
	ds_read_b32 v79, v7 offset:21952                           // 00000001B83C: D86C55C0 4F000007
	v_mul_f32_e32 v41, v52, v41                                // 00000001B844: 0A525334
	v_mov_b32_e32 v15, v160                                    // 00000001B848: 7E1E03A0
	v_add_f32_e32 v15, v161, v15                               // 00000001B84C: 021E1FA1
	v_add_f32_e32 v15, v162, v15                               // 00000001B850: 021E1FA2
	v_add_f32_e32 v15, v163, v15                               // 00000001B854: 021E1FA3
	v_add_f32_e32 v15, v164, v15                               // 00000001B858: 021E1FA4
	v_add_f32_e32 v15, v165, v15                               // 00000001B85C: 021E1FA5
	v_add_f32_e32 v15, v166, v15                               // 00000001B860: 021E1FA6
	v_add_f32_e32 v15, v167, v15                               // 00000001B864: 021E1FA7
	v_add_f32_e32 v15, v168, v15                               // 00000001B868: 021E1FA8
	v_add_f32_e32 v15, v169, v15                               // 00000001B86C: 021E1FA9
	v_add_f32_e32 v15, v170, v15                               // 00000001B870: 021E1FAA
	v_add_f32_e32 v15, v171, v15                               // 00000001B874: 021E1FAB
	v_add_f32_e32 v15, v172, v15                               // 00000001B878: 021E1FAC
	v_add_f32_e32 v15, v173, v15                               // 00000001B87C: 021E1FAD
	v_add_f32_e32 v15, v174, v15                               // 00000001B880: 021E1FAE
	v_add_f32_e32 v15, v175, v15                               // 00000001B884: 021E1FAF
	v_add_f32_e32 v41, v15, v41                                // 00000001B888: 0252530F
	s_waitcnt lgkmcnt(0)                                       // 00000001B88C: BF8CC07F
	v_max3_f32 v48, |v64|, |v65|, v48                          // 00000001B890: D1D30330 04C28340
	v_max3_f32 v48, |v66|, |v67|, v48                          // 00000001B898: D1D30330 04C28742
	v_max3_f32 v48, |v68|, |v69|, v48                          // 00000001B8A0: D1D30330 04C28B44
	v_max3_f32 v48, |v70|, |v71|, v48                          // 00000001B8A8: D1D30330 04C28F46
	v_max3_f32 v48, |v72|, |v73|, v48                          // 00000001B8B0: D1D30330 04C29348
	v_max3_f32 v48, |v74|, |v75|, v48                          // 00000001B8B8: D1D30330 04C2974A
	v_max3_f32 v48, |v76|, |v77|, v48                          // 00000001B8C0: D1D30330 04C29B4C
	v_max3_f32 v48, |v78|, |v79|, v48                          // 00000001B8C8: D1D30330 04C29F4E
	s_nop 2                                                    // 00000001B8D0: BF800002
	v_rcp_f32_e32 v48, v48                                     // 00000001B8D4: 7E604530
	s_nop 1                                                    // 00000001B8D8: BF800001
	v_mul_f32_e32 v48, 0x43e00000, v48                         // 00000001B8DC: 0A6060FF 43E00000
	v_mul_f32_e32 v160, v48, v240                              // 00000001B8E4: 0B41E130
	v_mul_f32_e32 v161, v48, v241                              // 00000001B8E8: 0B43E330
	v_mul_f32_e32 v162, v48, v242                              // 00000001B8EC: 0B45E530
	v_mul_f32_e32 v163, v48, v243                              // 00000001B8F0: 0B47E730
	v_mul_f32_e32 v164, v48, v244                              // 00000001B8F4: 0B49E930
	v_mul_f32_e32 v165, v48, v245                              // 00000001B8F8: 0B4BEB30
	v_mul_f32_e32 v166, v48, v246                              // 00000001B8FC: 0B4DED30
	v_mul_f32_e32 v167, v48, v247                              // 00000001B900: 0B4FEF30
	v_mul_f32_e32 v168, v48, v248                              // 00000001B904: 0B51F130
	v_mul_f32_e32 v169, v48, v249                              // 00000001B908: 0B53F330
	v_mul_f32_e32 v170, v48, v250                              // 00000001B90C: 0B55F530
	v_mul_f32_e32 v171, v48, v251                              // 00000001B910: 0B57F730
	v_mul_f32_e32 v172, v48, v252                              // 00000001B914: 0B59F930
	v_mul_f32_e32 v173, v48, v253                              // 00000001B918: 0B5BFB30
	v_mul_f32_e32 v174, v48, v254                              // 00000001B91C: 0B5DFD30
	v_mul_f32_e32 v175, v48, v255                              // 00000001B920: 0B5FFF30
	v_cvt_pk_fp8_f32 v160, v160, v161                          // 00000001B924: D2A200A0 000343A0
	v_cvt_pk_fp8_f32 v160, v162, v163 op_sel:[0,0,1]           // 00000001B92C: D2A240A0 000347A2
	v_cvt_pk_fp8_f32 v161, v164, v165                          // 00000001B934: D2A200A1 00034BA4
	v_cvt_pk_fp8_f32 v161, v166, v167 op_sel:[0,0,1]           // 00000001B93C: D2A240A1 00034FA6
	v_cvt_pk_fp8_f32 v162, v168, v169                          // 00000001B944: D2A200A2 000353A8
	v_cvt_pk_fp8_f32 v162, v170, v171 op_sel:[0,0,1]           // 00000001B94C: D2A240A2 000357AA
	v_cvt_pk_fp8_f32 v163, v172, v173                          // 00000001B954: D2A200A3 00035BAC
	v_cvt_pk_fp8_f32 v163, v174, v175 op_sel:[0,0,1]           // 00000001B95C: D2A240A3 00035FAE
	ds_write_b32 v10, v160 offset:37376                        // 00000001B964: D81A9200 0000A00A
	ds_write_b32 v10, v161 offset:38400                        // 00000001B96C: D81A9600 0000A10A
	ds_write_b32 v10, v162 offset:39424                        // 00000001B974: D81A9A00 0000A20A
	ds_write_b32 v10, v163 offset:40448                        // 00000001B97C: D81A9E00 0000A30A
	v_add_f32_e32 v232, v232, v200                             // 00000001B984: 03D191E8
	v_add_f32_e32 v233, v233, v201                             // 00000001B988: 03D393E9
	v_add_f32_e32 v234, v234, v202                             // 00000001B98C: 03D595EA
	v_add_f32_e32 v235, v235, v203                             // 00000001B990: 03D797EB
	v_add_f32_e32 v236, v236, v204                             // 00000001B994: 03D999EC
	v_add_f32_e32 v237, v237, v205                             // 00000001B998: 03DB9BED
	v_add_f32_e32 v238, v238, v206                             // 00000001B99C: 03DD9DEE
	v_add_f32_e32 v239, v239, v207                             // 00000001B9A0: 03DF9FEF
	v_rcp_f32_e32 v47, v48                                     // 00000001B9A4: 7E5E4530
	s_waitcnt lgkmcnt(0)                                       // 00000001B9A8: BF8CC07F
	s_barrier                                                  // 00000001B9AC: BF8A0000
	ds_read_b64 v[160:161], v9 offset:37376                    // 00000001B9B0: D8EC9200 A0000009
	ds_read_b64 v[162:163], v9 offset:37504                    // 00000001B9B8: D8EC9280 A2000009
	ds_read_b64 v[164:165], v9 offset:38400                    // 00000001B9C0: D8EC9600 A4000009
	ds_read_b64 v[166:167], v9 offset:38528                    // 00000001B9C8: D8EC9680 A6000009
	ds_read_b64 v[168:169], v9 offset:39424                    // 00000001B9D0: D8EC9A00 A8000009
	ds_read_b64 v[170:171], v9 offset:39552                    // 00000001B9D8: D8EC9A80 AA000009
	ds_read_b64 v[172:173], v9 offset:40448                    // 00000001B9E0: D8EC9E00 AC000009
	ds_read_b64 v[174:175], v9 offset:40576                    // 00000001B9E8: D8EC9E80 AE000009
	s_waitcnt vmcnt(15)                                        // 00000001B9F0: BF8C0F7F
	v_mfma_f32_16x16x32_fp8_fp8 v[176:179], a[64:65], v[112:113], 0// 00000001B9F4: D3F300B0 0A02E140
	v_mfma_f32_16x16x32_fp8_fp8 v[176:179], a[66:67], v[114:115], v[176:179]// 00000001B9FC: D3F300B0 0EC2E542
	buffer_load_dwordx4 a[112:115], v34, s[20:23], 0 offen offset:1024// 00000001BA04: E05C1400 80857022
	v_mfma_f32_16x16x32_fp8_fp8 v[176:179], a[68:69], v[116:117], v[176:179]// 00000001BA0C: D3F300B0 0EC2E944
	v_mfma_f32_16x16x32_fp8_fp8 v[176:179], a[70:71], v[118:119], v[176:179]// 00000001BA14: D3F300B0 0EC2ED46
	v_mfma_f32_16x16x32_fp8_fp8 v[176:179], a[72:73], v[120:121], v[176:179]// 00000001BA1C: D3F300B0 0EC2F148
	v_mfma_f32_16x16x32_fp8_fp8 v[176:179], a[74:75], v[122:123], v[176:179]// 00000001BA24: D3F300B0 0EC2F54A
	buffer_load_dwordx4 a[116:119], v35, s[20:23], 0 offen offset:1024// 00000001BA2C: E05C1400 80857423
	v_mfma_f32_16x16x32_fp8_fp8 v[176:179], a[76:77], v[124:125], v[176:179]// 00000001BA34: D3F300B0 0EC2F94C
	v_mfma_f32_16x16x32_fp8_fp8 v[176:179], a[78:79], v[126:127], v[176:179]// 00000001BA3C: D3F300B0 0EC2FD4E
	v_mfma_f32_16x16x32_fp8_fp8 v[180:183], a[80:81], v[112:113], 0// 00000001BA44: D3F300B4 0A02E150
	v_mfma_f32_16x16x32_fp8_fp8 v[180:183], a[82:83], v[114:115], v[180:183]// 00000001BA4C: D3F300B4 0ED2E552
	buffer_load_dwordx4 a[120:123], v36, s[20:23], 0 offen offset:1024// 00000001BA54: E05C1400 80857824
	v_mfma_f32_16x16x32_fp8_fp8 v[180:183], a[84:85], v[116:117], v[180:183]// 00000001BA5C: D3F300B4 0ED2E954
	v_mfma_f32_16x16x32_fp8_fp8 v[180:183], a[86:87], v[118:119], v[180:183]// 00000001BA64: D3F300B4 0ED2ED56
	v_mfma_f32_16x16x32_fp8_fp8 v[180:183], a[88:89], v[120:121], v[180:183]// 00000001BA6C: D3F300B4 0ED2F158
	v_mfma_f32_16x16x32_fp8_fp8 v[180:183], a[90:91], v[122:123], v[180:183]// 00000001BA74: D3F300B4 0ED2F55A
	buffer_load_dwordx4 a[124:127], v37, s[20:23], 0 offen offset:1024// 00000001BA7C: E05C1400 80857C25
	v_mfma_f32_16x16x32_fp8_fp8 v[180:183], a[92:93], v[124:125], v[180:183]// 00000001BA84: D3F300B4 0ED2F95C
	s_lshr_b32 s57, s70, 4                                     // 00000001BA8C: 8F398446
	s_add_u32 s57, 48, s57                                     // 00000001BA90: 803939B0
	v_mfma_f32_16x16x32_fp8_fp8 v[180:183], a[94:95], v[126:127], v[180:183]// 00000001BA94: D3F300B4 0ED2FD5E
	s_cmp_ge_u32 s57, s73                                      // 00000001BA9C: BF094939
	s_cselect_b32 s56, 0, s56                                  // 00000001BAA0: 85383880
	v_mfma_f32_16x16x32_fp8_fp8 v[184:187], a[64:65], v[128:129], 0// 00000001BAA4: D3F300B8 0A030140
	v_mfma_f32_16x16x32_fp8_fp8 v[184:187], a[66:67], v[130:131], v[184:187]// 00000001BAAC: D3F300B8 0EE30542
	v_mfma_f32_16x16x32_fp8_fp8 v[184:187], a[68:69], v[132:133], v[184:187]// 00000001BAB4: D3F300B8 0EE30944
	v_mfma_f32_16x16x32_fp8_fp8 v[184:187], a[70:71], v[134:135], v[184:187]// 00000001BABC: D3F300B8 0EE30D46
	v_mfma_f32_16x16x32_fp8_fp8 v[184:187], a[72:73], v[136:137], v[184:187]// 00000001BAC4: D3F300B8 0EE31148
	v_mfma_f32_16x16x32_fp8_fp8 v[184:187], a[74:75], v[138:139], v[184:187]// 00000001BACC: D3F300B8 0EE3154A
	v_mfma_f32_16x16x32_fp8_fp8 v[184:187], a[76:77], v[140:141], v[184:187]// 00000001BAD4: D3F300B8 0EE3194C
	v_mfma_f32_16x16x32_fp8_fp8 v[184:187], a[78:79], v[142:143], v[184:187]// 00000001BADC: D3F300B8 0EE31D4E
	v_mfma_f32_16x16x32_fp8_fp8 v[188:191], a[80:81], v[128:129], 0// 00000001BAE4: D3F300BC 0A030150
	v_mfma_f32_16x16x32_fp8_fp8 v[188:191], a[82:83], v[130:131], v[188:191]// 00000001BAEC: D3F300BC 0EF30552
	v_mfma_f32_16x16x32_fp8_fp8 v[188:191], a[84:85], v[132:133], v[188:191]// 00000001BAF4: D3F300BC 0EF30954
	v_mfma_f32_16x16x32_fp8_fp8 v[188:191], a[86:87], v[134:135], v[188:191]// 00000001BAFC: D3F300BC 0EF30D56
	v_mfma_f32_16x16x32_fp8_fp8 v[188:191], a[88:89], v[136:137], v[188:191]// 00000001BB04: D3F300BC 0EF31158
	v_mfma_f32_16x16x32_fp8_fp8 v[188:191], a[90:91], v[138:139], v[188:191]// 00000001BB0C: D3F300BC 0EF3155A
	v_mfma_f32_16x16x32_fp8_fp8 v[188:191], a[92:93], v[140:141], v[188:191]// 00000001BB14: D3F300BC 0EF3195C
	v_mfma_f32_16x16x32_fp8_fp8 v[188:191], a[94:95], v[142:143], v[188:191]// 00000001BB1C: D3F300BC 0EF31D5E
	v_mfma_f32_16x16x32_fp8_fp8 v[192:195], a[64:65], v[144:145], 0// 00000001BB24: D3F300C0 0A032140
	v_mfma_f32_16x16x32_fp8_fp8 v[192:195], a[66:67], v[146:147], v[192:195]// 00000001BB2C: D3F300C0 0F032542
	v_mfma_f32_16x16x32_fp8_fp8 v[192:195], a[68:69], v[148:149], v[192:195]// 00000001BB34: D3F300C0 0F032944
	v_mfma_f32_16x16x32_fp8_fp8 v[192:195], a[70:71], v[150:151], v[192:195]// 00000001BB3C: D3F300C0 0F032D46
	v_mfma_f32_16x16x32_fp8_fp8 v[192:195], a[72:73], v[152:153], v[192:195]// 00000001BB44: D3F300C0 0F033148
	v_mfma_f32_16x16x32_fp8_fp8 v[192:195], a[74:75], v[154:155], v[192:195]// 00000001BB4C: D3F300C0 0F03354A
	v_mfma_f32_16x16x32_fp8_fp8 v[192:195], a[76:77], v[156:157], v[192:195]// 00000001BB54: D3F300C0 0F03394C
	v_mfma_f32_16x16x32_fp8_fp8 v[192:195], a[78:79], v[158:159], v[192:195]// 00000001BB5C: D3F300C0 0F033D4E
	v_mfma_f32_16x16x32_fp8_fp8 v[196:199], a[80:81], v[144:145], 0// 00000001BB64: D3F300C4 0A032150
	v_mfma_f32_16x16x32_fp8_fp8 v[196:199], a[82:83], v[146:147], v[196:199]// 00000001BB6C: D3F300C4 0F132552
	v_mfma_f32_16x16x32_fp8_fp8 v[196:199], a[84:85], v[148:149], v[196:199]// 00000001BB74: D3F300C4 0F132954
	v_mfma_f32_16x16x32_fp8_fp8 v[196:199], a[86:87], v[150:151], v[196:199]// 00000001BB7C: D3F300C4 0F132D56
	v_mfma_f32_16x16x32_fp8_fp8 v[196:199], a[88:89], v[152:153], v[196:199]// 00000001BB84: D3F300C4 0F133158
	v_mfma_f32_16x16x32_fp8_fp8 v[196:199], a[90:91], v[154:155], v[196:199]// 00000001BB8C: D3F300C4 0F13355A
	v_mfma_f32_16x16x32_fp8_fp8 v[196:199], a[92:93], v[156:157], v[196:199]// 00000001BB94: D3F300C4 0F13395C
	v_mfma_f32_16x16x32_fp8_fp8 v[196:199], a[94:95], v[158:159], v[196:199]// 00000001BB9C: D3F300C4 0F133D5E
	v_mfma_f32_16x16x32_fp8_fp8 v[200:203], a[64:65], v[160:161], 0// 00000001BBA4: D3F300C8 0A034140
	v_mfma_f32_16x16x32_fp8_fp8 v[200:203], a[66:67], v[162:163], v[200:203]// 00000001BBAC: D3F300C8 0F234542
	v_mfma_f32_16x16x32_fp8_fp8 v[200:203], a[68:69], v[164:165], v[200:203]// 00000001BBB4: D3F300C8 0F234944
	v_mfma_f32_16x16x32_fp8_fp8 v[200:203], a[70:71], v[166:167], v[200:203]// 00000001BBBC: D3F300C8 0F234D46
	v_mfma_f32_16x16x32_fp8_fp8 v[200:203], a[72:73], v[168:169], v[200:203]// 00000001BBC4: D3F300C8 0F235148
	v_mfma_f32_16x16x32_fp8_fp8 v[200:203], a[74:75], v[170:171], v[200:203]// 00000001BBCC: D3F300C8 0F23554A
	v_mfma_f32_16x16x32_fp8_fp8 v[200:203], a[76:77], v[172:173], v[200:203]// 00000001BBD4: D3F300C8 0F23594C
	v_mfma_f32_16x16x32_fp8_fp8 v[200:203], a[78:79], v[174:175], v[200:203]// 00000001BBDC: D3F300C8 0F235D4E
	v_mfma_f32_16x16x32_fp8_fp8 v[204:207], a[80:81], v[160:161], 0// 00000001BBE4: D3F300CC 0A034150
	v_mfma_f32_16x16x32_fp8_fp8 v[204:207], a[82:83], v[162:163], v[204:207]// 00000001BBEC: D3F300CC 0F334552
	v_mfma_f32_16x16x32_fp8_fp8 v[204:207], a[84:85], v[164:165], v[204:207]// 00000001BBF4: D3F300CC 0F334954
	v_mfma_f32_16x16x32_fp8_fp8 v[204:207], a[86:87], v[166:167], v[204:207]// 00000001BBFC: D3F300CC 0F334D56
	v_mfma_f32_16x16x32_fp8_fp8 v[204:207], a[88:89], v[168:169], v[204:207]// 00000001BC04: D3F300CC 0F335158
	v_mfma_f32_16x16x32_fp8_fp8 v[204:207], a[90:91], v[170:171], v[204:207]// 00000001BC0C: D3F300CC 0F33555A
	v_mfma_f32_16x16x32_fp8_fp8 v[204:207], a[92:93], v[172:173], v[204:207]// 00000001BC14: D3F300CC 0F33595C
	v_mfma_f32_16x16x32_fp8_fp8 v[204:207], a[94:95], v[174:175], v[204:207]// 00000001BC1C: D3F300CC 0F335D5E
	v_add_u32_e32 v1, s56, v1                                  // 00000001BC24: 68020238
	s_addk_i32 s70, 0x100                                      // 00000001BC28: B7460100
	s_cmp_lt_i32 s70, s71                                      // 00000001BC2C: BF044746
	s_cbranch_scc0 label_6EBC                                  // 00000001BC30: BF84082F
	s_waitcnt vmcnt(8) lgkmcnt(0)                              // 00000001BC34: BF8C0078
	v_mul_u32_u24_dpp v64, v16, v54 row_newbcast:0 row_mask:0xf bank_mask:0xf// 00000001BC38: 10806CFA FF015010
	v_mul_u32_u24_dpp v65, v16, v54 row_newbcast:4 row_mask:0xf bank_mask:0xf// 00000001BC40: 10826CFA FF015410
	v_mul_u32_u24_dpp v66, v16, v54 row_newbcast:8 row_mask:0xf bank_mask:0xf// 00000001BC48: 10846CFA FF015810
	v_mul_u32_u24_dpp v67, v16, v54 row_newbcast:12 row_mask:0xf bank_mask:0xf// 00000001BC50: 10866CFA FF015C10
	v_add_u32_e32 v22, v64, v5                                 // 00000001BC58: 682C0B40
	v_add_u32_e32 v23, v65, v5                                 // 00000001BC5C: 682E0B41
	v_add_u32_e32 v24, v66, v5                                 // 00000001BC60: 68300B42
	v_add_u32_e32 v25, v67, v5                                 // 00000001BC64: 68320B43
	v_mul_u32_u24_dpp v64, v16, v63 quad_perm:[0,0,0,0] row_mask:0xf bank_mask:0xf// 00000001BC68: 10807EFA FF000010
	v_add_u32_e32 v2, v64, v59                                 // 00000001BC70: 68047740
	v_mul_u32_u24_dpp v64, v16, v63 quad_perm:[0,0,0,0] row_mask:0xf bank_mask:0xf// 00000001BC74: 10807EFA FF000010
	v_add_u32_e32 v55, v64, v60                                // 00000001BC7C: 686E7940
	v_mfma_f32_16x16x32_fp8_fp8 v[112:115], a[32:33], v[80:81], 0// 00000001BC80: D3F30070 0A02A120
	v_mfma_f32_16x16x32_fp8_fp8 v[112:115], a[34:35], v[82:83], v[112:115]// 00000001BC88: D3F30070 0DC2A522
	buffer_load_dwordx4 a[0:3], v22, s[16:19], 0 offen         // 00000001BC90: E05C1000 80840016
	v_mfma_f32_16x16x32_fp8_fp8 v[112:115], a[36:37], v[84:85], v[112:115]// 00000001BC98: D3F30070 0DC2A924
	v_mfma_f32_16x16x32_fp8_fp8 v[112:115], a[38:39], v[86:87], v[112:115]// 00000001BCA0: D3F30070 0DC2AD26
	buffer_load_dword v17, v1, s[24:27], 0 offen               // 00000001BCA8: E0501000 80061101
	v_mfma_f32_16x16x32_fp8_fp8 v[116:119], a[40:41], v[80:81], 0// 00000001BCB0: D3F30074 0A02A128
	v_mfma_f32_16x16x32_fp8_fp8 v[116:119], a[42:43], v[82:83], v[116:119]// 00000001BCB8: D3F30074 0DD2A52A
	buffer_load_dwordx4 a[4:7], v22, s[16:19], 0 offen offset:1024// 00000001BCC0: E05C1400 80840416
	v_mfma_f32_16x16x32_fp8_fp8 v[116:119], a[44:45], v[84:85], v[116:119]// 00000001BCC8: D3F30074 0DD2A92C
	v_mfma_f32_16x16x32_fp8_fp8 v[116:119], a[46:47], v[86:87], v[116:119]// 00000001BCD0: D3F30074 0DD2AD2E
	v_mfma_f32_16x16x32_fp8_fp8 v[120:123], a[48:49], v[80:81], 0// 00000001BCD8: D3F30078 0A02A130
	v_mfma_f32_16x16x32_fp8_fp8 v[120:123], a[50:51], v[82:83], v[120:123]// 00000001BCE0: D3F30078 0DE2A532
	buffer_load_dwordx4 a[8:11], v23, s[16:19], 0 offen        // 00000001BCE8: E05C1000 80840817
	v_mfma_f32_16x16x32_fp8_fp8 v[120:123], a[52:53], v[84:85], v[120:123]// 00000001BCF0: D3F30078 0DE2A934
	v_mfma_f32_16x16x32_fp8_fp8 v[120:123], a[54:55], v[86:87], v[120:123]// 00000001BCF8: D3F30078 0DE2AD36
	v_mfma_f32_16x16x32_fp8_fp8 v[124:127], a[56:57], v[80:81], 0// 00000001BD00: D3F3007C 0A02A138
	v_mfma_f32_16x16x32_fp8_fp8 v[124:127], a[58:59], v[82:83], v[124:127]// 00000001BD08: D3F3007C 0DF2A53A
	buffer_load_dwordx4 a[12:15], v23, s[16:19], 0 offen offset:1024// 00000001BD10: E05C1400 80840C17
	v_mfma_f32_16x16x32_fp8_fp8 v[124:127], a[60:61], v[84:85], v[124:127]// 00000001BD18: D3F3007C 0DF2A93C
	v_mfma_f32_16x16x32_fp8_fp8 v[124:127], a[62:63], v[86:87], v[124:127]// 00000001BD20: D3F3007C 0DF2AD3E
	v_mfma_f32_16x16x32_fp8_fp8 v[128:131], a[32:33], v[88:89], 0// 00000001BD28: D3F30080 0A02B120
	v_mfma_f32_16x16x32_fp8_fp8 v[128:131], a[34:35], v[90:91], v[128:131]// 00000001BD30: D3F30080 0E02B522
	v_mfma_f32_16x16x32_fp8_fp8 v[128:131], a[36:37], v[92:93], v[128:131]// 00000001BD38: D3F30080 0E02B924
	v_mfma_f32_16x16x32_fp8_fp8 v[128:131], a[38:39], v[94:95], v[128:131]// 00000001BD40: D3F30080 0E02BD26
	v_mfma_f32_16x16x32_fp8_fp8 v[132:135], a[40:41], v[88:89], 0// 00000001BD48: D3F30084 0A02B128
	v_mfma_f32_16x16x32_fp8_fp8 v[132:135], a[42:43], v[90:91], v[132:135]// 00000001BD50: D3F30084 0E12B52A
	v_mfma_f32_16x16x32_fp8_fp8 v[132:135], a[44:45], v[92:93], v[132:135]// 00000001BD58: D3F30084 0E12B92C
	v_mfma_f32_16x16x32_fp8_fp8 v[132:135], a[46:47], v[94:95], v[132:135]// 00000001BD60: D3F30084 0E12BD2E
	v_mfma_f32_16x16x32_fp8_fp8 v[136:139], a[48:49], v[88:89], 0// 00000001BD68: D3F30088 0A02B130
	v_mfma_f32_16x16x32_fp8_fp8 v[136:139], a[50:51], v[90:91], v[136:139]// 00000001BD70: D3F30088 0E22B532
	v_mfma_f32_16x16x32_fp8_fp8 v[136:139], a[52:53], v[92:93], v[136:139]// 00000001BD78: D3F30088 0E22B934
	v_mfma_f32_16x16x32_fp8_fp8 v[136:139], a[54:55], v[94:95], v[136:139]// 00000001BD80: D3F30088 0E22BD36
	v_mfma_f32_16x16x32_fp8_fp8 v[140:143], a[56:57], v[88:89], 0// 00000001BD88: D3F3008C 0A02B138
	v_mfma_f32_16x16x32_fp8_fp8 v[140:143], a[58:59], v[90:91], v[140:143]// 00000001BD90: D3F3008C 0E32B53A
	v_mfma_f32_16x16x32_fp8_fp8 v[140:143], a[60:61], v[92:93], v[140:143]// 00000001BD98: D3F3008C 0E32B93C
	v_mfma_f32_16x16x32_fp8_fp8 v[140:143], a[62:63], v[94:95], v[140:143]// 00000001BDA0: D3F3008C 0E32BD3E
	v_mfma_f32_16x16x32_fp8_fp8 v[144:147], a[32:33], v[96:97], 0// 00000001BDA8: D3F30090 0A02C120
	v_mfma_f32_16x16x32_fp8_fp8 v[144:147], a[34:35], v[98:99], v[144:147]// 00000001BDB0: D3F30090 0E42C522
	v_mfma_f32_16x16x32_fp8_fp8 v[144:147], a[36:37], v[100:101], v[144:147]// 00000001BDB8: D3F30090 0E42C924
	v_mfma_f32_16x16x32_fp8_fp8 v[144:147], a[38:39], v[102:103], v[144:147]// 00000001BDC0: D3F30090 0E42CD26
	v_mfma_f32_16x16x32_fp8_fp8 v[148:151], a[40:41], v[96:97], 0// 00000001BDC8: D3F30094 0A02C128
	v_mfma_f32_16x16x32_fp8_fp8 v[148:151], a[42:43], v[98:99], v[148:151]// 00000001BDD0: D3F30094 0E52C52A
	v_mfma_f32_16x16x32_fp8_fp8 v[148:151], a[44:45], v[100:101], v[148:151]// 00000001BDD8: D3F30094 0E52C92C
	v_mfma_f32_16x16x32_fp8_fp8 v[148:151], a[46:47], v[102:103], v[148:151]// 00000001BDE0: D3F30094 0E52CD2E
	v_mfma_f32_16x16x32_fp8_fp8 v[152:155], a[48:49], v[96:97], 0// 00000001BDE8: D3F30098 0A02C130
	v_mfma_f32_16x16x32_fp8_fp8 v[152:155], a[50:51], v[98:99], v[152:155]// 00000001BDF0: D3F30098 0E62C532
	v_mfma_f32_16x16x32_fp8_fp8 v[152:155], a[52:53], v[100:101], v[152:155]// 00000001BDF8: D3F30098 0E62C934
	v_mfma_f32_16x16x32_fp8_fp8 v[152:155], a[54:55], v[102:103], v[152:155]// 00000001BE00: D3F30098 0E62CD36
	v_mfma_f32_16x16x32_fp8_fp8 v[156:159], a[56:57], v[96:97], 0// 00000001BE08: D3F3009C 0A02C138
	v_mfma_f32_16x16x32_fp8_fp8 v[156:159], a[58:59], v[98:99], v[156:159]// 00000001BE10: D3F3009C 0E72C53A
	v_mfma_f32_16x16x32_fp8_fp8 v[156:159], a[60:61], v[100:101], v[156:159]// 00000001BE18: D3F3009C 0E72C93C
	v_mfma_f32_16x16x32_fp8_fp8 v[156:159], a[62:63], v[102:103], v[156:159]// 00000001BE20: D3F3009C 0E72CD3E
	v_mfma_f32_16x16x32_fp8_fp8 v[160:163], a[32:33], v[104:105], 0// 00000001BE28: D3F300A0 0A02D120
	v_mfma_f32_16x16x32_fp8_fp8 v[160:163], a[34:35], v[106:107], v[160:163]// 00000001BE30: D3F300A0 0E82D522
	v_mfma_f32_16x16x32_fp8_fp8 v[160:163], a[36:37], v[108:109], v[160:163]// 00000001BE38: D3F300A0 0E82D924
	v_mfma_f32_16x16x32_fp8_fp8 v[160:163], a[38:39], v[110:111], v[160:163]// 00000001BE40: D3F300A0 0E82DD26
	v_mfma_f32_16x16x32_fp8_fp8 v[164:167], a[40:41], v[104:105], 0// 00000001BE48: D3F300A4 0A02D128
	v_mfma_f32_16x16x32_fp8_fp8 v[164:167], a[42:43], v[106:107], v[164:167]// 00000001BE50: D3F300A4 0E92D52A
	v_mfma_f32_16x16x32_fp8_fp8 v[164:167], a[44:45], v[108:109], v[164:167]// 00000001BE58: D3F300A4 0E92D92C
	v_mfma_f32_16x16x32_fp8_fp8 v[164:167], a[46:47], v[110:111], v[164:167]// 00000001BE60: D3F300A4 0E92DD2E
	v_mfma_f32_16x16x32_fp8_fp8 v[168:171], a[48:49], v[104:105], 0// 00000001BE68: D3F300A8 0A02D130
	v_mfma_f32_16x16x32_fp8_fp8 v[168:171], a[50:51], v[106:107], v[168:171]// 00000001BE70: D3F300A8 0EA2D532
	v_mfma_f32_16x16x32_fp8_fp8 v[168:171], a[52:53], v[108:109], v[168:171]// 00000001BE78: D3F300A8 0EA2D934
	v_mfma_f32_16x16x32_fp8_fp8 v[168:171], a[54:55], v[110:111], v[168:171]// 00000001BE80: D3F300A8 0EA2DD36
	v_mfma_f32_16x16x32_fp8_fp8 v[172:175], a[56:57], v[104:105], 0// 00000001BE88: D3F300AC 0A02D138
	v_mfma_f32_16x16x32_fp8_fp8 v[172:175], a[58:59], v[106:107], v[172:175]// 00000001BE90: D3F300AC 0EB2D53A
	v_mfma_f32_16x16x32_fp8_fp8 v[172:175], a[60:61], v[108:109], v[172:175]// 00000001BE98: D3F300AC 0EB2D93C
	v_mfma_f32_16x16x32_fp8_fp8 v[172:175], a[62:63], v[110:111], v[172:175]// 00000001BEA0: D3F300AC 0EB2DD3E
	buffer_load_dword v42, v2, s[32:35], 0 offen               // 00000001BEA8: E0501000 80082A02
	v_mov_b32_dpp v64, v43 row_shr:4 row_mask:0xf bank_mask:0xf// 00000001BEB0: 7E8002FA FF01142B
	v_mov_b32_dpp v65, v43 row_shl:4 row_mask:0xf bank_mask:0xf// 00000001BEB8: 7E8202FA FF01042B
	v_cndmask_b32_e64 v248, v43, v64, s[44:45]                 // 00000001BEC0: D10000F8 00B2812B
	v_cndmask_b32_e64 v249, v65, v43, s[44:45]                 // 00000001BEC8: D10000F9 00B25741
	v_mov_b32_dpp v64, v248 row_shr:8 row_mask:0xf bank_mask:0xf// 00000001BED0: 7E8002FA FF0118F8
	v_mov_b32_dpp v65, v248 row_shl:8 row_mask:0xf bank_mask:0xf// 00000001BED8: 7E8202FA FF0108F8
	v_mov_b32_dpp v66, v249 row_shr:8 row_mask:0xf bank_mask:0xf// 00000001BEE0: 7E8402FA FF0118F9
	v_mov_b32_dpp v67, v249 row_shl:8 row_mask:0xf bank_mask:0xf// 00000001BEE8: 7E8602FA FF0108F9
	v_mov_b32_e32 v68, v248                                    // 00000001BEF0: 7E8803F8
	v_mov_b32_e32 v69, v249                                    // 00000001BEF4: 7E8A03F9
	v_cndmask_b32_e64 v248, v68, v64, s[42:43]                 // 00000001BEF8: D10000F8 00AA8144
	v_cndmask_b32_e64 v250, v68, v65, s[78:79]                 // 00000001BF00: D10000FA 013A8344
	v_cndmask_b32_e64 v249, v69, v66, s[42:43]                 // 00000001BF08: D10000F9 00AA8545
	v_cndmask_b32_e64 v251, v69, v67, s[78:79]                 // 00000001BF10: D10000FB 013A8745
	v_mov_b32_dpp v64, v58 row_shr:4 row_mask:0xf bank_mask:0xf// 00000001BF18: 7E8002FA FF01143A
	v_mov_b32_dpp v65, v58 row_shl:4 row_mask:0xf bank_mask:0xf// 00000001BF20: 7E8202FA FF01043A
	v_cndmask_b32_e64 v252, v58, v64, s[44:45]                 // 00000001BF28: D10000FC 00B2813A
	v_cndmask_b32_e64 v253, v65, v58, s[44:45]                 // 00000001BF30: D10000FD 00B27541
	v_mov_b32_dpp v64, v252 row_shr:8 row_mask:0xf bank_mask:0xf// 00000001BF38: 7E8002FA FF0118FC
	v_mov_b32_dpp v65, v252 row_shl:8 row_mask:0xf bank_mask:0xf// 00000001BF40: 7E8202FA FF0108FC
	v_mov_b32_dpp v66, v253 row_shr:8 row_mask:0xf bank_mask:0xf// 00000001BF48: 7E8402FA FF0118FD
	v_mov_b32_dpp v67, v253 row_shl:8 row_mask:0xf bank_mask:0xf// 00000001BF50: 7E8602FA FF0108FD
	v_mov_b32_e32 v68, v252                                    // 00000001BF58: 7E8803FC
	v_mov_b32_e32 v69, v253                                    // 00000001BF5C: 7E8A03FD
	v_cndmask_b32_e64 v252, v68, v64, s[42:43]                 // 00000001BF60: D10000FC 00AA8144
	v_cndmask_b32_e64 v254, v68, v65, s[78:79]                 // 00000001BF68: D10000FE 013A8344
	v_cndmask_b32_e64 v253, v69, v66, s[42:43]                 // 00000001BF70: D10000FD 00AA8545
	v_cndmask_b32_e64 v255, v69, v67, s[78:79]                 // 00000001BF78: D10000FF 013A8745
	buffer_load_dword v57, v55, s[36:39], 0 offen              // 00000001BF80: E0501000 80093937
	v_mul_f32_e32 v112, v18, v112                              // 00000001BF88: 0AE0E112
	v_mul_f32_e32 v113, v18, v113                              // 00000001BF8C: 0AE2E312
	v_mul_f32_e32 v114, v18, v114                              // 00000001BF90: 0AE4E512
	v_mul_f32_e32 v115, v18, v115                              // 00000001BF94: 0AE6E712
	v_mul_f32_e32 v116, v18, v116                              // 00000001BF98: 0AE8E912
	v_mul_f32_e32 v117, v18, v117                              // 00000001BF9C: 0AEAEB12
	v_mul_f32_e32 v118, v18, v118                              // 00000001BFA0: 0AECED12
	v_mul_f32_e32 v119, v18, v119                              // 00000001BFA4: 0AEEEF12
	v_mul_f32_e32 v120, v18, v120                              // 00000001BFA8: 0AF0F112
	v_mul_f32_e32 v121, v18, v121                              // 00000001BFAC: 0AF2F312
	v_mul_f32_e32 v122, v18, v122                              // 00000001BFB0: 0AF4F512
	v_mul_f32_e32 v123, v18, v123                              // 00000001BFB4: 0AF6F712
	v_mul_f32_e32 v124, v18, v124                              // 00000001BFB8: 0AF8F912
	v_mul_f32_e32 v125, v18, v125                              // 00000001BFBC: 0AFAFB12
	v_mul_f32_e32 v126, v18, v126                              // 00000001BFC0: 0AFCFD12
	v_mul_f32_e32 v127, v18, v127                              // 00000001BFC4: 0AFEFF12
	buffer_load_dwordx4 a[16:19], v24, s[16:19], 0 offen       // 00000001BFC8: E05C1000 80841018
	v_mul_f32_dpp v112, v248, v112 quad_perm:[0,0,0,0] row_mask:0xf bank_mask:0xf// 00000001BFD0: 0AE0E0FA FF0000F8
	v_mul_f32_dpp v113, v248, v113 quad_perm:[1,1,1,1] row_mask:0xf bank_mask:0xf// 00000001BFD8: 0AE2E2FA FF0055F8
	v_mul_f32_dpp v114, v248, v114 quad_perm:[2,2,2,2] row_mask:0xf bank_mask:0xf// 00000001BFE0: 0AE4E4FA FF00AAF8
	v_mul_f32_dpp v115, v248, v115 quad_perm:[3,3,3,3] row_mask:0xf bank_mask:0xf// 00000001BFE8: 0AE6E6FA FF00FFF8
	v_mul_f32_dpp v116, v249, v116 quad_perm:[0,0,0,0] row_mask:0xf bank_mask:0xf// 00000001BFF0: 0AE8E8FA FF0000F9
	v_mul_f32_dpp v117, v249, v117 quad_perm:[1,1,1,1] row_mask:0xf bank_mask:0xf// 00000001BFF8: 0AEAEAFA FF0055F9
	v_mul_f32_dpp v118, v249, v118 quad_perm:[2,2,2,2] row_mask:0xf bank_mask:0xf// 00000001C000: 0AECECFA FF00AAF9
	v_mul_f32_dpp v119, v249, v119 quad_perm:[3,3,3,3] row_mask:0xf bank_mask:0xf// 00000001C008: 0AEEEEFA FF00FFF9
	v_mul_f32_dpp v120, v250, v120 quad_perm:[0,0,0,0] row_mask:0xf bank_mask:0xf// 00000001C010: 0AF0F0FA FF0000FA
	v_mul_f32_dpp v121, v250, v121 quad_perm:[1,1,1,1] row_mask:0xf bank_mask:0xf// 00000001C018: 0AF2F2FA FF0055FA
	v_mul_f32_dpp v122, v250, v122 quad_perm:[2,2,2,2] row_mask:0xf bank_mask:0xf// 00000001C020: 0AF4F4FA FF00AAFA
	v_mul_f32_dpp v123, v250, v123 quad_perm:[3,3,3,3] row_mask:0xf bank_mask:0xf// 00000001C028: 0AF6F6FA FF00FFFA
	v_mul_f32_dpp v124, v251, v124 quad_perm:[0,0,0,0] row_mask:0xf bank_mask:0xf// 00000001C030: 0AF8F8FA FF0000FB
	v_mul_f32_dpp v125, v251, v125 quad_perm:[1,1,1,1] row_mask:0xf bank_mask:0xf// 00000001C038: 0AFAFAFA FF0055FB
	v_mul_f32_dpp v126, v251, v126 quad_perm:[2,2,2,2] row_mask:0xf bank_mask:0xf// 00000001C040: 0AFCFCFA FF00AAFB
	v_mul_f32_dpp v127, v251, v127 quad_perm:[3,3,3,3] row_mask:0xf bank_mask:0xf// 00000001C048: 0AFEFEFA FF00FFFB
	buffer_load_dwordx4 a[20:23], v24, s[16:19], 0 offen offset:1024// 00000001C050: E05C1400 80841418
	v_mov_b32_e32 v48, v112                                    // 00000001C058: 7E600370
	v_max3_f32 v48, v112, v113, v48                            // 00000001C05C: D1D30030 04C2E370
	v_max3_f32 v48, v114, v115, v48                            // 00000001C064: D1D30030 04C2E772
	v_max3_f32 v48, v116, v117, v48                            // 00000001C06C: D1D30030 04C2EB74
	v_max3_f32 v48, v118, v119, v48                            // 00000001C074: D1D30030 04C2EF76
	v_max3_f32 v48, v120, v121, v48                            // 00000001C07C: D1D30030 04C2F378
	v_max3_f32 v48, v122, v123, v48                            // 00000001C084: D1D30030 04C2F77A
	v_max3_f32 v48, v124, v125, v48                            // 00000001C08C: D1D30030 04C2FB7C
	v_max3_f32 v48, v126, v127, v48                            // 00000001C094: D1D30030 04C2FF7E
	ds_write_b32 v8, v48 offset:16896                          // 00000001C09C: D81A4200 00003008
	buffer_load_dwordx4 a[24:27], v25, s[16:19], 0 offen       // 00000001C0A4: E05C1000 80841819
	v_mul_u32_u24_dpp v64, v16, v54 row_newbcast:1 row_mask:0xf bank_mask:0xf// 00000001C0AC: 10806CFA FF015110
	v_mul_u32_u24_dpp v65, v16, v54 row_newbcast:5 row_mask:0xf bank_mask:0xf// 00000001C0B4: 10826CFA FF015510
	v_mul_u32_u24_dpp v66, v16, v54 row_newbcast:9 row_mask:0xf bank_mask:0xf// 00000001C0BC: 10846CFA FF015910
	v_mul_u32_u24_dpp v67, v16, v54 row_newbcast:13 row_mask:0xf bank_mask:0xf// 00000001C0C4: 10866CFA FF015D10
	v_add_u32_e32 v30, v64, v6                                 // 00000001C0CC: 683C0D40
	v_add_u32_e32 v31, v65, v6                                 // 00000001C0D0: 683E0D41
	v_add_u32_e32 v32, v66, v6                                 // 00000001C0D4: 68400D42
	v_add_u32_e32 v33, v67, v6                                 // 00000001C0D8: 68420D43
	v_mul_f32_e32 v208, v49, v208                              // 00000001C0DC: 0BA1A131
	v_mul_f32_e32 v209, v49, v209                              // 00000001C0E0: 0BA3A331
	v_mul_f32_e32 v210, v49, v210                              // 00000001C0E4: 0BA5A531
	v_mul_f32_e32 v211, v49, v211                              // 00000001C0E8: 0BA7A731
	v_mul_f32_e32 v212, v49, v212                              // 00000001C0EC: 0BA9A931
	v_mul_f32_e32 v213, v49, v213                              // 00000001C0F0: 0BABAB31
	v_mul_f32_e32 v214, v49, v214                              // 00000001C0F4: 0BADAD31
	v_mul_f32_e32 v215, v49, v215                              // 00000001C0F8: 0BAFAF31
	s_waitcnt lgkmcnt(0)                                       // 00000001C0FC: BF8CC07F
	s_barrier                                                  // 00000001C100: BF8A0000
	ds_read_b32 v64, v7 offset:16896                           // 00000001C104: D86C4200 40000007
	ds_read_b32 v65, v7 offset:16960                           // 00000001C10C: D86C4240 41000007
	ds_read_b32 v66, v7 offset:17024                           // 00000001C114: D86C4280 42000007
	ds_read_b32 v67, v7 offset:17088                           // 00000001C11C: D86C42C0 43000007
	ds_read_b32 v68, v7 offset:17152                           // 00000001C124: D86C4300 44000007
	ds_read_b32 v69, v7 offset:17216                           // 00000001C12C: D86C4340 45000007
	ds_read_b32 v70, v7 offset:17280                           // 00000001C134: D86C4380 46000007
	ds_read_b32 v71, v7 offset:17344                           // 00000001C13C: D86C43C0 47000007
	ds_read_b32 v72, v7 offset:17408                           // 00000001C144: D86C4400 48000007
	ds_read_b32 v73, v7 offset:17472                           // 00000001C14C: D86C4440 49000007
	ds_read_b32 v74, v7 offset:17536                           // 00000001C154: D86C4480 4A000007
	ds_read_b32 v75, v7 offset:17600                           // 00000001C15C: D86C44C0 4B000007
	ds_read_b32 v76, v7 offset:17664                           // 00000001C164: D86C4500 4C000007
	ds_read_b32 v77, v7 offset:17728                           // 00000001C16C: D86C4540 4D000007
	ds_read_b32 v78, v7 offset:17792                           // 00000001C174: D86C4580 4E000007
	ds_read_b32 v79, v7 offset:17856                           // 00000001C17C: D86C45C0 4F000007
	buffer_load_dwordx4 a[28:31], v25, s[16:19], 0 offen offset:1024// 00000001C184: E05C1400 80841C19
	v_mul_f32_e32 v176, v44, v176                              // 00000001C18C: 0B61612C
	v_mul_f32_e32 v177, v44, v177                              // 00000001C190: 0B63632C
	v_mul_f32_e32 v178, v44, v178                              // 00000001C194: 0B65652C
	v_mul_f32_e32 v179, v44, v179                              // 00000001C198: 0B67672C
	v_mul_f32_e32 v180, v44, v180                              // 00000001C19C: 0B69692C
	v_mul_f32_e32 v181, v44, v181                              // 00000001C1A0: 0B6B6B2C
	v_mul_f32_e32 v182, v44, v182                              // 00000001C1A4: 0B6D6D2C
	v_mul_f32_e32 v183, v44, v183                              // 00000001C1A8: 0B6F6F2C
	s_waitcnt lgkmcnt(0)                                       // 00000001C1AC: BF8CC07F
	v_max3_f32 v48, v64, v65, v48                              // 00000001C1B0: D1D30030 04C28340
	v_max3_f32 v48, v66, v67, v48                              // 00000001C1B8: D1D30030 04C28742
	v_max3_f32 v48, v68, v69, v48                              // 00000001C1C0: D1D30030 04C28B44
	v_max3_f32 v48, v70, v71, v48                              // 00000001C1C8: D1D30030 04C28F46
	v_max3_f32 v48, v72, v73, v48                              // 00000001C1D0: D1D30030 04C29348
	v_max3_f32 v48, v74, v75, v48                              // 00000001C1D8: D1D30030 04C2974A
	v_max3_f32 v48, v76, v77, v48                              // 00000001C1E0: D1D30030 04C29B4C
	v_max3_f32 v48, v78, v79, v48                              // 00000001C1E8: D1D30030 04C29F4E
	buffer_load_dwordx4 a[64:67], v30, s[20:23], 0 offen       // 00000001C1F0: E05C1000 8085401E
	v_mov_b32_e32 v64, 0xff800000                              // 00000001C1F8: 7E8002FF FF800000
	v_cmp_eq_u32_e64 s[40:41], v64, v11                        // 00000001C200: D0CA0028 00021740
	s_nop 1                                                    // 00000001C208: BF800001
	v_max_f32_e32 v15, v48, v11                                // 00000001C20C: 161E1730
	v_mul_f32_e32 v53, s64, v15                                // 00000001C210: 0A6A1E40
	v_fma_f32 v112, v112, s64, -v53                            // 00000001C214: D1CB0070 84D48170
	v_fma_f32 v113, v113, s64, -v53                            // 00000001C21C: D1CB0071 84D48171
	v_fma_f32 v114, v114, s64, -v53                            // 00000001C224: D1CB0072 84D48172
	v_fma_f32 v115, v115, s64, -v53                            // 00000001C22C: D1CB0073 84D48173
	v_fma_f32 v116, v116, s64, -v53                            // 00000001C234: D1CB0074 84D48174
	v_fma_f32 v117, v117, s64, -v53                            // 00000001C23C: D1CB0075 84D48175
	v_fma_f32 v118, v118, s64, -v53                            // 00000001C244: D1CB0076 84D48176
	v_fma_f32 v119, v119, s64, -v53                            // 00000001C24C: D1CB0077 84D48177
	v_fma_f32 v120, v120, s64, -v53                            // 00000001C254: D1CB0078 84D48178
	v_fma_f32 v121, v121, s64, -v53                            // 00000001C25C: D1CB0079 84D48179
	v_fma_f32 v122, v122, s64, -v53                            // 00000001C264: D1CB007A 84D4817A
	v_fma_f32 v123, v123, s64, -v53                            // 00000001C26C: D1CB007B 84D4817B
	v_fma_f32 v124, v124, s64, -v53                            // 00000001C274: D1CB007C 84D4817C
	v_fma_f32 v125, v125, s64, -v53                            // 00000001C27C: D1CB007D 84D4817D
	v_fma_f32 v126, v126, s64, -v53                            // 00000001C284: D1CB007E 84D4817E
	v_fma_f32 v127, v127, s64, -v53                            // 00000001C28C: D1CB007F 84D4817F
	buffer_load_dwordx4 a[68:71], v31, s[20:23], 0 offen       // 00000001C294: E05C1000 8085441F
	v_exp_f32_e32 v112, v112                                   // 00000001C29C: 7EE04170
	v_exp_f32_e32 v113, v113                                   // 00000001C2A0: 7EE24171
	v_exp_f32_e32 v114, v114                                   // 00000001C2A4: 7EE44172
	v_exp_f32_e32 v115, v115                                   // 00000001C2A8: 7EE64173
	v_exp_f32_e32 v116, v116                                   // 00000001C2AC: 7EE84174
	v_exp_f32_e32 v117, v117                                   // 00000001C2B0: 7EEA4175
	v_exp_f32_e32 v118, v118                                   // 00000001C2B4: 7EEC4176
	v_exp_f32_e32 v119, v119                                   // 00000001C2B8: 7EEE4177
	v_exp_f32_e32 v120, v120                                   // 00000001C2BC: 7EF04178
	v_exp_f32_e32 v121, v121                                   // 00000001C2C0: 7EF24179
	v_exp_f32_e32 v122, v122                                   // 00000001C2C4: 7EF4417A
	v_exp_f32_e32 v123, v123                                   // 00000001C2C8: 7EF6417B
	v_exp_f32_e32 v124, v124                                   // 00000001C2CC: 7EF8417C
	v_exp_f32_e32 v125, v125                                   // 00000001C2D0: 7EFA417D
	v_exp_f32_e32 v126, v126                                   // 00000001C2D4: 7EFC417E
	v_exp_f32_e32 v127, v127                                   // 00000001C2D8: 7EFE417F
	buffer_load_dwordx4 a[72:75], v32, s[20:23], 0 offen       // 00000001C2DC: E05C1000 80854820
	v_mul_f32_dpp v240, v252, v112 quad_perm:[0,0,0,0] row_mask:0xf bank_mask:0xf// 00000001C2E4: 0BE0E0FA FF0000FC
	v_mul_f32_dpp v241, v252, v113 quad_perm:[1,1,1,1] row_mask:0xf bank_mask:0xf// 00000001C2EC: 0BE2E2FA FF0055FC
	v_mul_f32_dpp v242, v252, v114 quad_perm:[2,2,2,2] row_mask:0xf bank_mask:0xf// 00000001C2F4: 0BE4E4FA FF00AAFC
	v_mul_f32_dpp v243, v252, v115 quad_perm:[3,3,3,3] row_mask:0xf bank_mask:0xf// 00000001C2FC: 0BE6E6FA FF00FFFC
	v_mul_f32_dpp v244, v253, v116 quad_perm:[0,0,0,0] row_mask:0xf bank_mask:0xf// 00000001C304: 0BE8E8FA FF0000FD
	v_mul_f32_dpp v245, v253, v117 quad_perm:[1,1,1,1] row_mask:0xf bank_mask:0xf// 00000001C30C: 0BEAEAFA FF0055FD
	v_mul_f32_dpp v246, v253, v118 quad_perm:[2,2,2,2] row_mask:0xf bank_mask:0xf// 00000001C314: 0BECECFA FF00AAFD
	v_mul_f32_dpp v247, v253, v119 quad_perm:[3,3,3,3] row_mask:0xf bank_mask:0xf// 00000001C31C: 0BEEEEFA FF00FFFD
	v_mul_f32_dpp v248, v254, v120 quad_perm:[0,0,0,0] row_mask:0xf bank_mask:0xf// 00000001C324: 0BF0F0FA FF0000FE
	v_mul_f32_dpp v249, v254, v121 quad_perm:[1,1,1,1] row_mask:0xf bank_mask:0xf// 00000001C32C: 0BF2F2FA FF0055FE
	v_mul_f32_dpp v250, v254, v122 quad_perm:[2,2,2,2] row_mask:0xf bank_mask:0xf// 00000001C334: 0BF4F4FA FF00AAFE
	v_mul_f32_dpp v251, v254, v123 quad_perm:[3,3,3,3] row_mask:0xf bank_mask:0xf// 00000001C33C: 0BF6F6FA FF00FFFE
	v_mul_f32_dpp v252, v255, v124 quad_perm:[0,0,0,0] row_mask:0xf bank_mask:0xf// 00000001C344: 0BF8F8FA FF0000FF
	v_mul_f32_dpp v253, v255, v125 quad_perm:[1,1,1,1] row_mask:0xf bank_mask:0xf// 00000001C34C: 0BFAFAFA FF0055FF
	v_mul_f32_dpp v254, v255, v126 quad_perm:[2,2,2,2] row_mask:0xf bank_mask:0xf// 00000001C354: 0BFCFCFA FF00AAFF
	v_mul_f32_dpp v255, v255, v127 quad_perm:[3,3,3,3] row_mask:0xf bank_mask:0xf// 00000001C35C: 0BFEFEFA FF00FFFF
	v_mov_b32_e32 v48, 0x358637bd                              // 00000001C364: 7E6002FF 358637BD
	v_max3_f32 v48, |v240|, |v241|, v48                        // 00000001C36C: D1D30330 04C3E3F0
	v_max3_f32 v48, |v242|, |v243|, v48                        // 00000001C374: D1D30330 04C3E7F2
	v_max3_f32 v48, |v244|, |v245|, v48                        // 00000001C37C: D1D30330 04C3EBF4
	v_max3_f32 v48, |v246|, |v247|, v48                        // 00000001C384: D1D30330 04C3EFF6
	v_max3_f32 v48, |v248|, |v249|, v48                        // 00000001C38C: D1D30330 04C3F3F8
	v_max3_f32 v48, |v250|, |v251|, v48                        // 00000001C394: D1D30330 04C3F7FA
	v_max3_f32 v48, |v252|, |v253|, v48                        // 00000001C39C: D1D30330 04C3FBFC
	v_max3_f32 v48, |v254|, |v255|, v48                        // 00000001C3A4: D1D30330 04C3FFFE
	buffer_load_dwordx4 a[76:79], v33, s[20:23], 0 offen       // 00000001C3AC: E05C1000 80854C21
	ds_write_b32 v8, v48 offset:20992                          // 00000001C3B4: D81A5200 00003008
	v_sub_f32_e32 v49, v11, v15                                // 00000001C3BC: 04621F0B
	v_cndmask_b32_e64 v49, v49, 0, s[40:41]                    // 00000001C3C0: D1000031 00A10131
	v_mov_b32_e32 v11, v15                                     // 00000001C3C8: 7E16030F
	v_mul_f32_e32 v49, s64, v49                                // 00000001C3CC: 0A626240
	v_exp_f32_e32 v49, v49                                     // 00000001C3D0: 7E624131
	s_waitcnt lgkmcnt(0)                                       // 00000001C3D4: BF8CC07F
	s_barrier                                                  // 00000001C3D8: BF8A0000
	ds_read_b32 v64, v7 offset:20992                           // 00000001C3DC: D86C5200 40000007
	ds_read_b32 v65, v7 offset:21056                           // 00000001C3E4: D86C5240 41000007
	ds_read_b32 v66, v7 offset:21120                           // 00000001C3EC: D86C5280 42000007
	ds_read_b32 v67, v7 offset:21184                           // 00000001C3F4: D86C52C0 43000007
	ds_read_b32 v68, v7 offset:21248                           // 00000001C3FC: D86C5300 44000007
	ds_read_b32 v69, v7 offset:21312                           // 00000001C404: D86C5340 45000007
	ds_read_b32 v70, v7 offset:21376                           // 00000001C40C: D86C5380 46000007
	ds_read_b32 v71, v7 offset:21440                           // 00000001C414: D86C53C0 47000007
	ds_read_b32 v72, v7 offset:21504                           // 00000001C41C: D86C5400 48000007
	ds_read_b32 v73, v7 offset:21568                           // 00000001C424: D86C5440 49000007
	ds_read_b32 v74, v7 offset:21632                           // 00000001C42C: D86C5480 4A000007
	ds_read_b32 v75, v7 offset:21696                           // 00000001C434: D86C54C0 4B000007
	ds_read_b32 v76, v7 offset:21760                           // 00000001C43C: D86C5500 4C000007
	ds_read_b32 v77, v7 offset:21824                           // 00000001C444: D86C5540 4D000007
	ds_read_b32 v78, v7 offset:21888                           // 00000001C44C: D86C5580 4E000007
	ds_read_b32 v79, v7 offset:21952                           // 00000001C454: D86C55C0 4F000007
	v_mul_f32_e32 v38, v49, v38                                // 00000001C45C: 0A4C4D31
	v_mov_b32_e32 v15, v112                                    // 00000001C460: 7E1E0370
	v_add_f32_e32 v15, v113, v15                               // 00000001C464: 021E1F71
	v_add_f32_e32 v15, v114, v15                               // 00000001C468: 021E1F72
	v_add_f32_e32 v15, v115, v15                               // 00000001C46C: 021E1F73
	v_add_f32_e32 v15, v116, v15                               // 00000001C470: 021E1F74
	v_add_f32_e32 v15, v117, v15                               // 00000001C474: 021E1F75
	v_add_f32_e32 v15, v118, v15                               // 00000001C478: 021E1F76
	v_add_f32_e32 v15, v119, v15                               // 00000001C47C: 021E1F77
	v_add_f32_e32 v15, v120, v15                               // 00000001C480: 021E1F78
	v_add_f32_e32 v15, v121, v15                               // 00000001C484: 021E1F79
	v_add_f32_e32 v15, v122, v15                               // 00000001C488: 021E1F7A
	v_add_f32_e32 v15, v123, v15                               // 00000001C48C: 021E1F7B
	v_add_f32_e32 v15, v124, v15                               // 00000001C490: 021E1F7C
	v_add_f32_e32 v15, v125, v15                               // 00000001C494: 021E1F7D
	v_add_f32_e32 v15, v126, v15                               // 00000001C498: 021E1F7E
	v_add_f32_e32 v15, v127, v15                               // 00000001C49C: 021E1F7F
	v_add_f32_e32 v38, v15, v38                                // 00000001C4A0: 024C4D0F
	s_waitcnt lgkmcnt(0)                                       // 00000001C4A4: BF8CC07F
	v_max3_f32 v48, |v64|, |v65|, v48                          // 00000001C4A8: D1D30330 04C28340
	v_max3_f32 v48, |v66|, |v67|, v48                          // 00000001C4B0: D1D30330 04C28742
	v_max3_f32 v48, |v68|, |v69|, v48                          // 00000001C4B8: D1D30330 04C28B44
	v_max3_f32 v48, |v70|, |v71|, v48                          // 00000001C4C0: D1D30330 04C28F46
	v_max3_f32 v48, |v72|, |v73|, v48                          // 00000001C4C8: D1D30330 04C29348
	v_max3_f32 v48, |v74|, |v75|, v48                          // 00000001C4D0: D1D30330 04C2974A
	v_max3_f32 v48, |v76|, |v77|, v48                          // 00000001C4D8: D1D30330 04C29B4C
	v_max3_f32 v48, |v78|, |v79|, v48                          // 00000001C4E0: D1D30330 04C29F4E
	s_nop 2                                                    // 00000001C4E8: BF800002
	v_rcp_f32_e32 v48, v48                                     // 00000001C4EC: 7E604530
	s_nop 1                                                    // 00000001C4F0: BF800001
	v_mul_f32_e32 v48, 0x43e00000, v48                         // 00000001C4F4: 0A6060FF 43E00000
	v_mul_f32_e32 v112, v48, v240                              // 00000001C4FC: 0AE1E130
	v_mul_f32_e32 v113, v48, v241                              // 00000001C500: 0AE3E330
	v_mul_f32_e32 v114, v48, v242                              // 00000001C504: 0AE5E530
	v_mul_f32_e32 v115, v48, v243                              // 00000001C508: 0AE7E730
	v_mul_f32_e32 v116, v48, v244                              // 00000001C50C: 0AE9E930
	v_mul_f32_e32 v117, v48, v245                              // 00000001C510: 0AEBEB30
	v_mul_f32_e32 v118, v48, v246                              // 00000001C514: 0AEDED30
	v_mul_f32_e32 v119, v48, v247                              // 00000001C518: 0AEFEF30
	v_mul_f32_e32 v120, v48, v248                              // 00000001C51C: 0AF1F130
	v_mul_f32_e32 v121, v48, v249                              // 00000001C520: 0AF3F330
	v_mul_f32_e32 v122, v48, v250                              // 00000001C524: 0AF5F530
	v_mul_f32_e32 v123, v48, v251                              // 00000001C528: 0AF7F730
	v_mul_f32_e32 v124, v48, v252                              // 00000001C52C: 0AF9F930
	v_mul_f32_e32 v125, v48, v253                              // 00000001C530: 0AFBFB30
	v_mul_f32_e32 v126, v48, v254                              // 00000001C534: 0AFDFD30
	v_mul_f32_e32 v127, v48, v255                              // 00000001C538: 0AFFFF30
	v_cvt_pk_fp8_f32 v112, v112, v113                          // 00000001C53C: D2A20070 0002E370
	v_cvt_pk_fp8_f32 v112, v114, v115 op_sel:[0,0,1]           // 00000001C544: D2A24070 0002E772
	v_cvt_pk_fp8_f32 v113, v116, v117                          // 00000001C54C: D2A20071 0002EB74
	v_cvt_pk_fp8_f32 v113, v118, v119 op_sel:[0,0,1]           // 00000001C554: D2A24071 0002EF76
	v_cvt_pk_fp8_f32 v114, v120, v121                          // 00000001C55C: D2A20072 0002F378
	v_cvt_pk_fp8_f32 v114, v122, v123 op_sel:[0,0,1]           // 00000001C564: D2A24072 0002F77A
	v_cvt_pk_fp8_f32 v115, v124, v125                          // 00000001C56C: D2A20073 0002FB7C
	v_cvt_pk_fp8_f32 v115, v126, v127 op_sel:[0,0,1]           // 00000001C574: D2A24073 0002FF7E
	ds_write_b32 v10, v112 offset:25088                        // 00000001C57C: D81A6200 0000700A
	ds_write_b32 v10, v113 offset:26112                        // 00000001C584: D81A6600 0000710A
	ds_write_b32 v10, v114 offset:27136                        // 00000001C58C: D81A6A00 0000720A
	ds_write_b32 v10, v115 offset:28160                        // 00000001C594: D81A6E00 0000730A
	v_add_f32_e32 v208, v208, v176                             // 00000001C59C: 03A161D0
	v_add_f32_e32 v209, v209, v177                             // 00000001C5A0: 03A363D1
	v_add_f32_e32 v210, v210, v178                             // 00000001C5A4: 03A565D2
	v_add_f32_e32 v211, v211, v179                             // 00000001C5A8: 03A767D3
	v_add_f32_e32 v212, v212, v180                             // 00000001C5AC: 03A969D4
	v_add_f32_e32 v213, v213, v181                             // 00000001C5B0: 03AB6BD5
	v_add_f32_e32 v214, v214, v182                             // 00000001C5B4: 03AD6DD6
	v_add_f32_e32 v215, v215, v183                             // 00000001C5B8: 03AF6FD7
	v_rcp_f32_e32 v44, v48                                     // 00000001C5BC: 7E584530
	s_waitcnt lgkmcnt(0)                                       // 00000001C5C0: BF8CC07F
	s_barrier                                                  // 00000001C5C4: BF8A0000
	ds_read_b64 v[112:113], v9 offset:25088                    // 00000001C5C8: D8EC6200 70000009
	ds_read_b64 v[114:115], v9 offset:25216                    // 00000001C5D0: D8EC6280 72000009
	ds_read_b64 v[116:117], v9 offset:26112                    // 00000001C5D8: D8EC6600 74000009
	ds_read_b64 v[118:119], v9 offset:26240                    // 00000001C5E0: D8EC6680 76000009
	ds_read_b64 v[120:121], v9 offset:27136                    // 00000001C5E8: D8EC6A00 78000009
	ds_read_b64 v[122:123], v9 offset:27264                    // 00000001C5F0: D8EC6A80 7A000009
	ds_read_b64 v[124:125], v9 offset:28160                    // 00000001C5F8: D8EC6E00 7C000009
	ds_read_b64 v[126:127], v9 offset:28288                    // 00000001C600: D8EC6E80 7E000009
	v_mov_b32_dpp v64, v43 row_shr:4 row_mask:0xf bank_mask:0xf// 00000001C608: 7E8002FA FF01142B
	v_mov_b32_dpp v65, v43 row_shl:4 row_mask:0xf bank_mask:0xf// 00000001C610: 7E8202FA FF01042B
	v_cndmask_b32_e64 v248, v43, v64, s[44:45]                 // 00000001C618: D10000F8 00B2812B
	v_cndmask_b32_e64 v249, v65, v43, s[44:45]                 // 00000001C620: D10000F9 00B25741
	v_mov_b32_dpp v64, v248 row_shr:8 row_mask:0xf bank_mask:0xf// 00000001C628: 7E8002FA FF0118F8
	v_mov_b32_dpp v65, v248 row_shl:8 row_mask:0xf bank_mask:0xf// 00000001C630: 7E8202FA FF0108F8
	v_mov_b32_dpp v66, v249 row_shr:8 row_mask:0xf bank_mask:0xf// 00000001C638: 7E8402FA FF0118F9
	v_mov_b32_dpp v67, v249 row_shl:8 row_mask:0xf bank_mask:0xf// 00000001C640: 7E8602FA FF0108F9
	v_mov_b32_e32 v68, v248                                    // 00000001C648: 7E8803F8
	v_mov_b32_e32 v69, v249                                    // 00000001C64C: 7E8A03F9
	v_cndmask_b32_e64 v248, v68, v64, s[42:43]                 // 00000001C650: D10000F8 00AA8144
	v_cndmask_b32_e64 v250, v68, v65, s[78:79]                 // 00000001C658: D10000FA 013A8344
	v_cndmask_b32_e64 v249, v69, v66, s[42:43]                 // 00000001C660: D10000F9 00AA8545
	v_cndmask_b32_e64 v251, v69, v67, s[78:79]                 // 00000001C668: D10000FB 013A8745
	v_mov_b32_dpp v64, v58 row_shr:4 row_mask:0xf bank_mask:0xf// 00000001C670: 7E8002FA FF01143A
	v_mov_b32_dpp v65, v58 row_shl:4 row_mask:0xf bank_mask:0xf// 00000001C678: 7E8202FA FF01043A
	v_cndmask_b32_e64 v252, v58, v64, s[44:45]                 // 00000001C680: D10000FC 00B2813A
	v_cndmask_b32_e64 v253, v65, v58, s[44:45]                 // 00000001C688: D10000FD 00B27541
	v_mov_b32_dpp v64, v252 row_shr:8 row_mask:0xf bank_mask:0xf// 00000001C690: 7E8002FA FF0118FC
	v_mov_b32_dpp v65, v252 row_shl:8 row_mask:0xf bank_mask:0xf// 00000001C698: 7E8202FA FF0108FC
	v_mov_b32_dpp v66, v253 row_shr:8 row_mask:0xf bank_mask:0xf// 00000001C6A0: 7E8402FA FF0118FD
	v_mov_b32_dpp v67, v253 row_shl:8 row_mask:0xf bank_mask:0xf// 00000001C6A8: 7E8602FA FF0108FD
	v_mov_b32_e32 v68, v252                                    // 00000001C6B0: 7E8803FC
	v_mov_b32_e32 v69, v253                                    // 00000001C6B4: 7E8A03FD
	v_cndmask_b32_e64 v252, v68, v64, s[42:43]                 // 00000001C6B8: D10000FC 00AA8144
	v_cndmask_b32_e64 v254, v68, v65, s[78:79]                 // 00000001C6C0: D10000FE 013A8344
	v_cndmask_b32_e64 v253, v69, v66, s[42:43]                 // 00000001C6C8: D10000FD 00AA8545
	v_cndmask_b32_e64 v255, v69, v67, s[78:79]                 // 00000001C6D0: D10000FF 013A8745
	v_mul_f32_e32 v128, v19, v128                              // 00000001C6D8: 0B010113
	v_mul_f32_e32 v129, v19, v129                              // 00000001C6DC: 0B030313
	v_mul_f32_e32 v130, v19, v130                              // 00000001C6E0: 0B050513
	v_mul_f32_e32 v131, v19, v131                              // 00000001C6E4: 0B070713
	v_mul_f32_e32 v132, v19, v132                              // 00000001C6E8: 0B090913
	v_mul_f32_e32 v133, v19, v133                              // 00000001C6EC: 0B0B0B13
	v_mul_f32_e32 v134, v19, v134                              // 00000001C6F0: 0B0D0D13
	v_mul_f32_e32 v135, v19, v135                              // 00000001C6F4: 0B0F0F13
	v_mul_f32_e32 v136, v19, v136                              // 00000001C6F8: 0B111113
	v_mul_f32_e32 v137, v19, v137                              // 00000001C6FC: 0B131313
	v_mul_f32_e32 v138, v19, v138                              // 00000001C700: 0B151513
	v_mul_f32_e32 v139, v19, v139                              // 00000001C704: 0B171713
	v_mul_f32_e32 v140, v19, v140                              // 00000001C708: 0B191913
	v_mul_f32_e32 v141, v19, v141                              // 00000001C70C: 0B1B1B13
	v_mul_f32_e32 v142, v19, v142                              // 00000001C710: 0B1D1D13
	v_mul_f32_e32 v143, v19, v143                              // 00000001C714: 0B1F1F13
	v_mul_f32_dpp v128, v248, v128 quad_perm:[0,0,0,0] row_mask:0xf bank_mask:0xf// 00000001C718: 0B0100FA FF0000F8
	v_mul_f32_dpp v129, v248, v129 quad_perm:[1,1,1,1] row_mask:0xf bank_mask:0xf// 00000001C720: 0B0302FA FF0055F8
	v_mul_f32_dpp v130, v248, v130 quad_perm:[2,2,2,2] row_mask:0xf bank_mask:0xf// 00000001C728: 0B0504FA FF00AAF8
	v_mul_f32_dpp v131, v248, v131 quad_perm:[3,3,3,3] row_mask:0xf bank_mask:0xf// 00000001C730: 0B0706FA FF00FFF8
	v_mul_f32_dpp v132, v249, v132 quad_perm:[0,0,0,0] row_mask:0xf bank_mask:0xf// 00000001C738: 0B0908FA FF0000F9
	v_mul_f32_dpp v133, v249, v133 quad_perm:[1,1,1,1] row_mask:0xf bank_mask:0xf// 00000001C740: 0B0B0AFA FF0055F9
	v_mul_f32_dpp v134, v249, v134 quad_perm:[2,2,2,2] row_mask:0xf bank_mask:0xf// 00000001C748: 0B0D0CFA FF00AAF9
	v_mul_f32_dpp v135, v249, v135 quad_perm:[3,3,3,3] row_mask:0xf bank_mask:0xf// 00000001C750: 0B0F0EFA FF00FFF9
	v_mul_f32_dpp v136, v250, v136 quad_perm:[0,0,0,0] row_mask:0xf bank_mask:0xf// 00000001C758: 0B1110FA FF0000FA
	v_mul_f32_dpp v137, v250, v137 quad_perm:[1,1,1,1] row_mask:0xf bank_mask:0xf// 00000001C760: 0B1312FA FF0055FA
	v_mul_f32_dpp v138, v250, v138 quad_perm:[2,2,2,2] row_mask:0xf bank_mask:0xf// 00000001C768: 0B1514FA FF00AAFA
	v_mul_f32_dpp v139, v250, v139 quad_perm:[3,3,3,3] row_mask:0xf bank_mask:0xf// 00000001C770: 0B1716FA FF00FFFA
	v_mul_f32_dpp v140, v251, v140 quad_perm:[0,0,0,0] row_mask:0xf bank_mask:0xf// 00000001C778: 0B1918FA FF0000FB
	v_mul_f32_dpp v141, v251, v141 quad_perm:[1,1,1,1] row_mask:0xf bank_mask:0xf// 00000001C780: 0B1B1AFA FF0055FB
	v_mul_f32_dpp v142, v251, v142 quad_perm:[2,2,2,2] row_mask:0xf bank_mask:0xf// 00000001C788: 0B1D1CFA FF00AAFB
	v_mul_f32_dpp v143, v251, v143 quad_perm:[3,3,3,3] row_mask:0xf bank_mask:0xf// 00000001C790: 0B1F1EFA FF00FFFB
	v_mov_b32_e32 v48, v128                                    // 00000001C798: 7E600380
	v_max3_f32 v48, v128, v129, v48                            // 00000001C79C: D1D30030 04C30380
	v_max3_f32 v48, v130, v131, v48                            // 00000001C7A4: D1D30030 04C30782
	v_max3_f32 v48, v132, v133, v48                            // 00000001C7AC: D1D30030 04C30B84
	v_max3_f32 v48, v134, v135, v48                            // 00000001C7B4: D1D30030 04C30F86
	v_max3_f32 v48, v136, v137, v48                            // 00000001C7BC: D1D30030 04C31388
	v_max3_f32 v48, v138, v139, v48                            // 00000001C7C4: D1D30030 04C3178A
	v_max3_f32 v48, v140, v141, v48                            // 00000001C7CC: D1D30030 04C31B8C
	v_max3_f32 v48, v142, v143, v48                            // 00000001C7D4: D1D30030 04C31F8E
	ds_write_b32 v8, v48 offset:16896                          // 00000001C7DC: D81A4200 00003008
	v_mul_f32_e32 v216, v50, v216                              // 00000001C7E4: 0BB1B132
	v_mul_f32_e32 v217, v50, v217                              // 00000001C7E8: 0BB3B332
	v_mul_f32_e32 v218, v50, v218                              // 00000001C7EC: 0BB5B532
	v_mul_f32_e32 v219, v50, v219                              // 00000001C7F0: 0BB7B732
	v_mul_f32_e32 v220, v50, v220                              // 00000001C7F4: 0BB9B932
	v_mul_f32_e32 v221, v50, v221                              // 00000001C7F8: 0BBBBB32
	v_mul_f32_e32 v222, v50, v222                              // 00000001C7FC: 0BBDBD32
	v_mul_f32_e32 v223, v50, v223                              // 00000001C800: 0BBFBF32
	s_waitcnt lgkmcnt(0)                                       // 00000001C804: BF8CC07F
	s_barrier                                                  // 00000001C808: BF8A0000
	ds_read_b32 v64, v7 offset:16896                           // 00000001C80C: D86C4200 40000007
	ds_read_b32 v65, v7 offset:16960                           // 00000001C814: D86C4240 41000007
	ds_read_b32 v66, v7 offset:17024                           // 00000001C81C: D86C4280 42000007
	ds_read_b32 v67, v7 offset:17088                           // 00000001C824: D86C42C0 43000007
	ds_read_b32 v68, v7 offset:17152                           // 00000001C82C: D86C4300 44000007
	ds_read_b32 v69, v7 offset:17216                           // 00000001C834: D86C4340 45000007
	ds_read_b32 v70, v7 offset:17280                           // 00000001C83C: D86C4380 46000007
	ds_read_b32 v71, v7 offset:17344                           // 00000001C844: D86C43C0 47000007
	ds_read_b32 v72, v7 offset:17408                           // 00000001C84C: D86C4400 48000007
	ds_read_b32 v73, v7 offset:17472                           // 00000001C854: D86C4440 49000007
	ds_read_b32 v74, v7 offset:17536                           // 00000001C85C: D86C4480 4A000007
	ds_read_b32 v75, v7 offset:17600                           // 00000001C864: D86C44C0 4B000007
	ds_read_b32 v76, v7 offset:17664                           // 00000001C86C: D86C4500 4C000007
	ds_read_b32 v77, v7 offset:17728                           // 00000001C874: D86C4540 4D000007
	ds_read_b32 v78, v7 offset:17792                           // 00000001C87C: D86C4580 4E000007
	ds_read_b32 v79, v7 offset:17856                           // 00000001C884: D86C45C0 4F000007
	v_mul_f32_e32 v184, v45, v184                              // 00000001C88C: 0B71712D
	v_mul_f32_e32 v185, v45, v185                              // 00000001C890: 0B73732D
	v_mul_f32_e32 v186, v45, v186                              // 00000001C894: 0B75752D
	v_mul_f32_e32 v187, v45, v187                              // 00000001C898: 0B77772D
	v_mul_f32_e32 v188, v45, v188                              // 00000001C89C: 0B79792D
	v_mul_f32_e32 v189, v45, v189                              // 00000001C8A0: 0B7B7B2D
	v_mul_f32_e32 v190, v45, v190                              // 00000001C8A4: 0B7D7D2D
	v_mul_f32_e32 v191, v45, v191                              // 00000001C8A8: 0B7F7F2D
	s_waitcnt lgkmcnt(0)                                       // 00000001C8AC: BF8CC07F
	v_max3_f32 v48, v64, v65, v48                              // 00000001C8B0: D1D30030 04C28340
	v_max3_f32 v48, v66, v67, v48                              // 00000001C8B8: D1D30030 04C28742
	v_max3_f32 v48, v68, v69, v48                              // 00000001C8C0: D1D30030 04C28B44
	v_max3_f32 v48, v70, v71, v48                              // 00000001C8C8: D1D30030 04C28F46
	v_max3_f32 v48, v72, v73, v48                              // 00000001C8D0: D1D30030 04C29348
	v_max3_f32 v48, v74, v75, v48                              // 00000001C8D8: D1D30030 04C2974A
	v_max3_f32 v48, v76, v77, v48                              // 00000001C8E0: D1D30030 04C29B4C
	v_max3_f32 v48, v78, v79, v48                              // 00000001C8E8: D1D30030 04C29F4E
	v_mov_b32_e32 v64, 0xff800000                              // 00000001C8F0: 7E8002FF FF800000
	v_cmp_eq_u32_e64 s[40:41], v64, v12                        // 00000001C8F8: D0CA0028 00021940
	s_nop 1                                                    // 00000001C900: BF800001
	v_max_f32_e32 v15, v48, v12                                // 00000001C904: 161E1930
	v_mul_f32_e32 v53, s64, v15                                // 00000001C908: 0A6A1E40
	v_fma_f32 v128, v128, s64, -v53                            // 00000001C90C: D1CB0080 84D48180
	v_fma_f32 v129, v129, s64, -v53                            // 00000001C914: D1CB0081 84D48181
	v_fma_f32 v130, v130, s64, -v53                            // 00000001C91C: D1CB0082 84D48182
	v_fma_f32 v131, v131, s64, -v53                            // 00000001C924: D1CB0083 84D48183
	v_fma_f32 v132, v132, s64, -v53                            // 00000001C92C: D1CB0084 84D48184
	v_fma_f32 v133, v133, s64, -v53                            // 00000001C934: D1CB0085 84D48185
	v_fma_f32 v134, v134, s64, -v53                            // 00000001C93C: D1CB0086 84D48186
	v_fma_f32 v135, v135, s64, -v53                            // 00000001C944: D1CB0087 84D48187
	v_fma_f32 v136, v136, s64, -v53                            // 00000001C94C: D1CB0088 84D48188
	v_fma_f32 v137, v137, s64, -v53                            // 00000001C954: D1CB0089 84D48189
	v_fma_f32 v138, v138, s64, -v53                            // 00000001C95C: D1CB008A 84D4818A
	v_fma_f32 v139, v139, s64, -v53                            // 00000001C964: D1CB008B 84D4818B
	v_fma_f32 v140, v140, s64, -v53                            // 00000001C96C: D1CB008C 84D4818C
	v_fma_f32 v141, v141, s64, -v53                            // 00000001C974: D1CB008D 84D4818D
	v_fma_f32 v142, v142, s64, -v53                            // 00000001C97C: D1CB008E 84D4818E
	v_fma_f32 v143, v143, s64, -v53                            // 00000001C984: D1CB008F 84D4818F
	v_exp_f32_e32 v128, v128                                   // 00000001C98C: 7F004180
	v_exp_f32_e32 v129, v129                                   // 00000001C990: 7F024181
	v_exp_f32_e32 v130, v130                                   // 00000001C994: 7F044182
	v_exp_f32_e32 v131, v131                                   // 00000001C998: 7F064183
	v_exp_f32_e32 v132, v132                                   // 00000001C99C: 7F084184
	v_exp_f32_e32 v133, v133                                   // 00000001C9A0: 7F0A4185
	v_exp_f32_e32 v134, v134                                   // 00000001C9A4: 7F0C4186
	v_exp_f32_e32 v135, v135                                   // 00000001C9A8: 7F0E4187
	v_exp_f32_e32 v136, v136                                   // 00000001C9AC: 7F104188
	v_exp_f32_e32 v137, v137                                   // 00000001C9B0: 7F124189
	v_exp_f32_e32 v138, v138                                   // 00000001C9B4: 7F14418A
	v_exp_f32_e32 v139, v139                                   // 00000001C9B8: 7F16418B
	v_exp_f32_e32 v140, v140                                   // 00000001C9BC: 7F18418C
	v_exp_f32_e32 v141, v141                                   // 00000001C9C0: 7F1A418D
	v_exp_f32_e32 v142, v142                                   // 00000001C9C4: 7F1C418E
	v_exp_f32_e32 v143, v143                                   // 00000001C9C8: 7F1E418F
	v_mul_f32_dpp v240, v252, v128 quad_perm:[0,0,0,0] row_mask:0xf bank_mask:0xf// 00000001C9CC: 0BE100FA FF0000FC
	v_mul_f32_dpp v241, v252, v129 quad_perm:[1,1,1,1] row_mask:0xf bank_mask:0xf// 00000001C9D4: 0BE302FA FF0055FC
	v_mul_f32_dpp v242, v252, v130 quad_perm:[2,2,2,2] row_mask:0xf bank_mask:0xf// 00000001C9DC: 0BE504FA FF00AAFC
	v_mul_f32_dpp v243, v252, v131 quad_perm:[3,3,3,3] row_mask:0xf bank_mask:0xf// 00000001C9E4: 0BE706FA FF00FFFC
	v_mul_f32_dpp v244, v253, v132 quad_perm:[0,0,0,0] row_mask:0xf bank_mask:0xf// 00000001C9EC: 0BE908FA FF0000FD
	v_mul_f32_dpp v245, v253, v133 quad_perm:[1,1,1,1] row_mask:0xf bank_mask:0xf// 00000001C9F4: 0BEB0AFA FF0055FD
	v_mul_f32_dpp v246, v253, v134 quad_perm:[2,2,2,2] row_mask:0xf bank_mask:0xf// 00000001C9FC: 0BED0CFA FF00AAFD
	v_mul_f32_dpp v247, v253, v135 quad_perm:[3,3,3,3] row_mask:0xf bank_mask:0xf// 00000001CA04: 0BEF0EFA FF00FFFD
	v_mul_f32_dpp v248, v254, v136 quad_perm:[0,0,0,0] row_mask:0xf bank_mask:0xf// 00000001CA0C: 0BF110FA FF0000FE
	v_mul_f32_dpp v249, v254, v137 quad_perm:[1,1,1,1] row_mask:0xf bank_mask:0xf// 00000001CA14: 0BF312FA FF0055FE
	v_mul_f32_dpp v250, v254, v138 quad_perm:[2,2,2,2] row_mask:0xf bank_mask:0xf// 00000001CA1C: 0BF514FA FF00AAFE
	v_mul_f32_dpp v251, v254, v139 quad_perm:[3,3,3,3] row_mask:0xf bank_mask:0xf// 00000001CA24: 0BF716FA FF00FFFE
	v_mul_f32_dpp v252, v255, v140 quad_perm:[0,0,0,0] row_mask:0xf bank_mask:0xf// 00000001CA2C: 0BF918FA FF0000FF
	v_mul_f32_dpp v253, v255, v141 quad_perm:[1,1,1,1] row_mask:0xf bank_mask:0xf// 00000001CA34: 0BFB1AFA FF0055FF
	v_mul_f32_dpp v254, v255, v142 quad_perm:[2,2,2,2] row_mask:0xf bank_mask:0xf// 00000001CA3C: 0BFD1CFA FF00AAFF
	v_mul_f32_dpp v255, v255, v143 quad_perm:[3,3,3,3] row_mask:0xf bank_mask:0xf// 00000001CA44: 0BFF1EFA FF00FFFF
	v_mov_b32_e32 v48, 0x358637bd                              // 00000001CA4C: 7E6002FF 358637BD
	v_max3_f32 v48, |v240|, |v241|, v48                        // 00000001CA54: D1D30330 04C3E3F0
	v_max3_f32 v48, |v242|, |v243|, v48                        // 00000001CA5C: D1D30330 04C3E7F2
	v_max3_f32 v48, |v244|, |v245|, v48                        // 00000001CA64: D1D30330 04C3EBF4
	v_max3_f32 v48, |v246|, |v247|, v48                        // 00000001CA6C: D1D30330 04C3EFF6
	v_max3_f32 v48, |v248|, |v249|, v48                        // 00000001CA74: D1D30330 04C3F3F8
	v_max3_f32 v48, |v250|, |v251|, v48                        // 00000001CA7C: D1D30330 04C3F7FA
	v_max3_f32 v48, |v252|, |v253|, v48                        // 00000001CA84: D1D30330 04C3FBFC
	v_max3_f32 v48, |v254|, |v255|, v48                        // 00000001CA8C: D1D30330 04C3FFFE
	ds_write_b32 v8, v48 offset:20992                          // 00000001CA94: D81A5200 00003008
	v_sub_f32_e32 v50, v12, v15                                // 00000001CA9C: 04641F0C
	v_cndmask_b32_e64 v50, v50, 0, s[40:41]                    // 00000001CAA0: D1000032 00A10132
	v_mov_b32_e32 v12, v15                                     // 00000001CAA8: 7E18030F
	v_mul_f32_e32 v50, s64, v50                                // 00000001CAAC: 0A646440
	v_exp_f32_e32 v50, v50                                     // 00000001CAB0: 7E644132
	s_waitcnt lgkmcnt(0)                                       // 00000001CAB4: BF8CC07F
	s_barrier                                                  // 00000001CAB8: BF8A0000
	ds_read_b32 v64, v7 offset:20992                           // 00000001CABC: D86C5200 40000007
	ds_read_b32 v65, v7 offset:21056                           // 00000001CAC4: D86C5240 41000007
	ds_read_b32 v66, v7 offset:21120                           // 00000001CACC: D86C5280 42000007
	ds_read_b32 v67, v7 offset:21184                           // 00000001CAD4: D86C52C0 43000007
	ds_read_b32 v68, v7 offset:21248                           // 00000001CADC: D86C5300 44000007
	ds_read_b32 v69, v7 offset:21312                           // 00000001CAE4: D86C5340 45000007
	ds_read_b32 v70, v7 offset:21376                           // 00000001CAEC: D86C5380 46000007
	ds_read_b32 v71, v7 offset:21440                           // 00000001CAF4: D86C53C0 47000007
	ds_read_b32 v72, v7 offset:21504                           // 00000001CAFC: D86C5400 48000007
	ds_read_b32 v73, v7 offset:21568                           // 00000001CB04: D86C5440 49000007
	ds_read_b32 v74, v7 offset:21632                           // 00000001CB0C: D86C5480 4A000007
	ds_read_b32 v75, v7 offset:21696                           // 00000001CB14: D86C54C0 4B000007
	ds_read_b32 v76, v7 offset:21760                           // 00000001CB1C: D86C5500 4C000007
	ds_read_b32 v77, v7 offset:21824                           // 00000001CB24: D86C5540 4D000007
	ds_read_b32 v78, v7 offset:21888                           // 00000001CB2C: D86C5580 4E000007
	ds_read_b32 v79, v7 offset:21952                           // 00000001CB34: D86C55C0 4F000007
	v_mul_f32_e32 v39, v50, v39                                // 00000001CB3C: 0A4E4F32
	v_mov_b32_e32 v15, v128                                    // 00000001CB40: 7E1E0380
	v_add_f32_e32 v15, v129, v15                               // 00000001CB44: 021E1F81
	v_add_f32_e32 v15, v130, v15                               // 00000001CB48: 021E1F82
	v_add_f32_e32 v15, v131, v15                               // 00000001CB4C: 021E1F83
	v_add_f32_e32 v15, v132, v15                               // 00000001CB50: 021E1F84
	v_add_f32_e32 v15, v133, v15                               // 00000001CB54: 021E1F85
	v_add_f32_e32 v15, v134, v15                               // 00000001CB58: 021E1F86
	v_add_f32_e32 v15, v135, v15                               // 00000001CB5C: 021E1F87
	v_add_f32_e32 v15, v136, v15                               // 00000001CB60: 021E1F88
	v_add_f32_e32 v15, v137, v15                               // 00000001CB64: 021E1F89
	v_add_f32_e32 v15, v138, v15                               // 00000001CB68: 021E1F8A
	v_add_f32_e32 v15, v139, v15                               // 00000001CB6C: 021E1F8B
	v_add_f32_e32 v15, v140, v15                               // 00000001CB70: 021E1F8C
	v_add_f32_e32 v15, v141, v15                               // 00000001CB74: 021E1F8D
	v_add_f32_e32 v15, v142, v15                               // 00000001CB78: 021E1F8E
	v_add_f32_e32 v15, v143, v15                               // 00000001CB7C: 021E1F8F
	v_add_f32_e32 v39, v15, v39                                // 00000001CB80: 024E4F0F
	s_waitcnt lgkmcnt(0)                                       // 00000001CB84: BF8CC07F
	v_max3_f32 v48, |v64|, |v65|, v48                          // 00000001CB88: D1D30330 04C28340
	v_max3_f32 v48, |v66|, |v67|, v48                          // 00000001CB90: D1D30330 04C28742
	v_max3_f32 v48, |v68|, |v69|, v48                          // 00000001CB98: D1D30330 04C28B44
	v_max3_f32 v48, |v70|, |v71|, v48                          // 00000001CBA0: D1D30330 04C28F46
	v_max3_f32 v48, |v72|, |v73|, v48                          // 00000001CBA8: D1D30330 04C29348
	v_max3_f32 v48, |v74|, |v75|, v48                          // 00000001CBB0: D1D30330 04C2974A
	v_max3_f32 v48, |v76|, |v77|, v48                          // 00000001CBB8: D1D30330 04C29B4C
	v_max3_f32 v48, |v78|, |v79|, v48                          // 00000001CBC0: D1D30330 04C29F4E
	s_nop 2                                                    // 00000001CBC8: BF800002
	v_rcp_f32_e32 v48, v48                                     // 00000001CBCC: 7E604530
	s_nop 1                                                    // 00000001CBD0: BF800001
	v_mul_f32_e32 v48, 0x43e00000, v48                         // 00000001CBD4: 0A6060FF 43E00000
	v_mul_f32_e32 v128, v48, v240                              // 00000001CBDC: 0B01E130
	v_mul_f32_e32 v129, v48, v241                              // 00000001CBE0: 0B03E330
	v_mul_f32_e32 v130, v48, v242                              // 00000001CBE4: 0B05E530
	v_mul_f32_e32 v131, v48, v243                              // 00000001CBE8: 0B07E730
	v_mul_f32_e32 v132, v48, v244                              // 00000001CBEC: 0B09E930
	v_mul_f32_e32 v133, v48, v245                              // 00000001CBF0: 0B0BEB30
	v_mul_f32_e32 v134, v48, v246                              // 00000001CBF4: 0B0DED30
	v_mul_f32_e32 v135, v48, v247                              // 00000001CBF8: 0B0FEF30
	v_mul_f32_e32 v136, v48, v248                              // 00000001CBFC: 0B11F130
	v_mul_f32_e32 v137, v48, v249                              // 00000001CC00: 0B13F330
	v_mul_f32_e32 v138, v48, v250                              // 00000001CC04: 0B15F530
	v_mul_f32_e32 v139, v48, v251                              // 00000001CC08: 0B17F730
	v_mul_f32_e32 v140, v48, v252                              // 00000001CC0C: 0B19F930
	v_mul_f32_e32 v141, v48, v253                              // 00000001CC10: 0B1BFB30
	v_mul_f32_e32 v142, v48, v254                              // 00000001CC14: 0B1DFD30
	v_mul_f32_e32 v143, v48, v255                              // 00000001CC18: 0B1FFF30
	v_cvt_pk_fp8_f32 v128, v128, v129                          // 00000001CC1C: D2A20080 00030380
	v_cvt_pk_fp8_f32 v128, v130, v131 op_sel:[0,0,1]           // 00000001CC24: D2A24080 00030782
	v_cvt_pk_fp8_f32 v129, v132, v133                          // 00000001CC2C: D2A20081 00030B84
	v_cvt_pk_fp8_f32 v129, v134, v135 op_sel:[0,0,1]           // 00000001CC34: D2A24081 00030F86
	v_cvt_pk_fp8_f32 v130, v136, v137                          // 00000001CC3C: D2A20082 00031388
	v_cvt_pk_fp8_f32 v130, v138, v139 op_sel:[0,0,1]           // 00000001CC44: D2A24082 0003178A
	v_cvt_pk_fp8_f32 v131, v140, v141                          // 00000001CC4C: D2A20083 00031B8C
	v_cvt_pk_fp8_f32 v131, v142, v143 op_sel:[0,0,1]           // 00000001CC54: D2A24083 00031F8E
	ds_write_b32 v10, v128 offset:29184                        // 00000001CC5C: D81A7200 0000800A
	ds_write_b32 v10, v129 offset:30208                        // 00000001CC64: D81A7600 0000810A
	ds_write_b32 v10, v130 offset:31232                        // 00000001CC6C: D81A7A00 0000820A
	ds_write_b32 v10, v131 offset:32256                        // 00000001CC74: D81A7E00 0000830A
	v_add_f32_e32 v216, v216, v184                             // 00000001CC7C: 03B171D8
	v_add_f32_e32 v217, v217, v185                             // 00000001CC80: 03B373D9
	v_add_f32_e32 v218, v218, v186                             // 00000001CC84: 03B575DA
	v_add_f32_e32 v219, v219, v187                             // 00000001CC88: 03B777DB
	v_add_f32_e32 v220, v220, v188                             // 00000001CC8C: 03B979DC
	v_add_f32_e32 v221, v221, v189                             // 00000001CC90: 03BB7BDD
	v_add_f32_e32 v222, v222, v190                             // 00000001CC94: 03BD7DDE
	v_add_f32_e32 v223, v223, v191                             // 00000001CC98: 03BF7FDF
	v_rcp_f32_e32 v45, v48                                     // 00000001CC9C: 7E5A4530
	s_waitcnt lgkmcnt(0)                                       // 00000001CCA0: BF8CC07F
	s_barrier                                                  // 00000001CCA4: BF8A0000
	ds_read_b64 v[128:129], v9 offset:29184                    // 00000001CCA8: D8EC7200 80000009
	ds_read_b64 v[130:131], v9 offset:29312                    // 00000001CCB0: D8EC7280 82000009
	ds_read_b64 v[132:133], v9 offset:30208                    // 00000001CCB8: D8EC7600 84000009
	ds_read_b64 v[134:135], v9 offset:30336                    // 00000001CCC0: D8EC7680 86000009
	ds_read_b64 v[136:137], v9 offset:31232                    // 00000001CCC8: D8EC7A00 88000009
	ds_read_b64 v[138:139], v9 offset:31360                    // 00000001CCD0: D8EC7A80 8A000009
	ds_read_b64 v[140:141], v9 offset:32256                    // 00000001CCD8: D8EC7E00 8C000009
	ds_read_b64 v[142:143], v9 offset:32384                    // 00000001CCE0: D8EC7E80 8E000009
	v_mov_b32_dpp v64, v43 row_shr:4 row_mask:0xf bank_mask:0xf// 00000001CCE8: 7E8002FA FF01142B
	v_mov_b32_dpp v65, v43 row_shl:4 row_mask:0xf bank_mask:0xf// 00000001CCF0: 7E8202FA FF01042B
	v_cndmask_b32_e64 v248, v43, v64, s[44:45]                 // 00000001CCF8: D10000F8 00B2812B
	v_cndmask_b32_e64 v249, v65, v43, s[44:45]                 // 00000001CD00: D10000F9 00B25741
	v_mov_b32_dpp v64, v248 row_shr:8 row_mask:0xf bank_mask:0xf// 00000001CD08: 7E8002FA FF0118F8
	v_mov_b32_dpp v65, v248 row_shl:8 row_mask:0xf bank_mask:0xf// 00000001CD10: 7E8202FA FF0108F8
	v_mov_b32_dpp v66, v249 row_shr:8 row_mask:0xf bank_mask:0xf// 00000001CD18: 7E8402FA FF0118F9
	v_mov_b32_dpp v67, v249 row_shl:8 row_mask:0xf bank_mask:0xf// 00000001CD20: 7E8602FA FF0108F9
	v_mov_b32_e32 v68, v248                                    // 00000001CD28: 7E8803F8
	v_mov_b32_e32 v69, v249                                    // 00000001CD2C: 7E8A03F9
	v_cndmask_b32_e64 v248, v68, v64, s[42:43]                 // 00000001CD30: D10000F8 00AA8144
	v_cndmask_b32_e64 v250, v68, v65, s[78:79]                 // 00000001CD38: D10000FA 013A8344
	v_cndmask_b32_e64 v249, v69, v66, s[42:43]                 // 00000001CD40: D10000F9 00AA8545
	v_cndmask_b32_e64 v251, v69, v67, s[78:79]                 // 00000001CD48: D10000FB 013A8745
	v_mov_b32_dpp v64, v58 row_shr:4 row_mask:0xf bank_mask:0xf// 00000001CD50: 7E8002FA FF01143A
	v_mov_b32_dpp v65, v58 row_shl:4 row_mask:0xf bank_mask:0xf// 00000001CD58: 7E8202FA FF01043A
	v_cndmask_b32_e64 v252, v58, v64, s[44:45]                 // 00000001CD60: D10000FC 00B2813A
	v_cndmask_b32_e64 v253, v65, v58, s[44:45]                 // 00000001CD68: D10000FD 00B27541
	v_mov_b32_dpp v64, v252 row_shr:8 row_mask:0xf bank_mask:0xf// 00000001CD70: 7E8002FA FF0118FC
	v_mov_b32_dpp v65, v252 row_shl:8 row_mask:0xf bank_mask:0xf// 00000001CD78: 7E8202FA FF0108FC
	v_mov_b32_dpp v66, v253 row_shr:8 row_mask:0xf bank_mask:0xf// 00000001CD80: 7E8402FA FF0118FD
	v_mov_b32_dpp v67, v253 row_shl:8 row_mask:0xf bank_mask:0xf// 00000001CD88: 7E8602FA FF0108FD
	v_mov_b32_e32 v68, v252                                    // 00000001CD90: 7E8803FC
	v_mov_b32_e32 v69, v253                                    // 00000001CD94: 7E8A03FD
	v_cndmask_b32_e64 v252, v68, v64, s[42:43]                 // 00000001CD98: D10000FC 00AA8144
	v_cndmask_b32_e64 v254, v68, v65, s[78:79]                 // 00000001CDA0: D10000FE 013A8344
	v_cndmask_b32_e64 v253, v69, v66, s[42:43]                 // 00000001CDA8: D10000FD 00AA8545
	v_cndmask_b32_e64 v255, v69, v67, s[78:79]                 // 00000001CDB0: D10000FF 013A8745
	v_mul_f32_e32 v144, v20, v144                              // 00000001CDB8: 0B212114
	v_mul_f32_e32 v145, v20, v145                              // 00000001CDBC: 0B232314
	v_mul_f32_e32 v146, v20, v146                              // 00000001CDC0: 0B252514
	v_mul_f32_e32 v147, v20, v147                              // 00000001CDC4: 0B272714
	v_mul_f32_e32 v148, v20, v148                              // 00000001CDC8: 0B292914
	v_mul_f32_e32 v149, v20, v149                              // 00000001CDCC: 0B2B2B14
	v_mul_f32_e32 v150, v20, v150                              // 00000001CDD0: 0B2D2D14
	v_mul_f32_e32 v151, v20, v151                              // 00000001CDD4: 0B2F2F14
	v_mul_f32_e32 v152, v20, v152                              // 00000001CDD8: 0B313114
	v_mul_f32_e32 v153, v20, v153                              // 00000001CDDC: 0B333314
	v_mul_f32_e32 v154, v20, v154                              // 00000001CDE0: 0B353514
	v_mul_f32_e32 v155, v20, v155                              // 00000001CDE4: 0B373714
	v_mul_f32_e32 v156, v20, v156                              // 00000001CDE8: 0B393914
	v_mul_f32_e32 v157, v20, v157                              // 00000001CDEC: 0B3B3B14
	v_mul_f32_e32 v158, v20, v158                              // 00000001CDF0: 0B3D3D14
	v_mul_f32_e32 v159, v20, v159                              // 00000001CDF4: 0B3F3F14
	v_mul_f32_dpp v144, v248, v144 quad_perm:[0,0,0,0] row_mask:0xf bank_mask:0xf// 00000001CDF8: 0B2120FA FF0000F8
	v_mul_f32_dpp v145, v248, v145 quad_perm:[1,1,1,1] row_mask:0xf bank_mask:0xf// 00000001CE00: 0B2322FA FF0055F8
	v_mul_f32_dpp v146, v248, v146 quad_perm:[2,2,2,2] row_mask:0xf bank_mask:0xf// 00000001CE08: 0B2524FA FF00AAF8
	v_mul_f32_dpp v147, v248, v147 quad_perm:[3,3,3,3] row_mask:0xf bank_mask:0xf// 00000001CE10: 0B2726FA FF00FFF8
	v_mul_f32_dpp v148, v249, v148 quad_perm:[0,0,0,0] row_mask:0xf bank_mask:0xf// 00000001CE18: 0B2928FA FF0000F9
	v_mul_f32_dpp v149, v249, v149 quad_perm:[1,1,1,1] row_mask:0xf bank_mask:0xf// 00000001CE20: 0B2B2AFA FF0055F9
	v_mul_f32_dpp v150, v249, v150 quad_perm:[2,2,2,2] row_mask:0xf bank_mask:0xf// 00000001CE28: 0B2D2CFA FF00AAF9
	v_mul_f32_dpp v151, v249, v151 quad_perm:[3,3,3,3] row_mask:0xf bank_mask:0xf// 00000001CE30: 0B2F2EFA FF00FFF9
	v_mul_f32_dpp v152, v250, v152 quad_perm:[0,0,0,0] row_mask:0xf bank_mask:0xf// 00000001CE38: 0B3130FA FF0000FA
	v_mul_f32_dpp v153, v250, v153 quad_perm:[1,1,1,1] row_mask:0xf bank_mask:0xf// 00000001CE40: 0B3332FA FF0055FA
	v_mul_f32_dpp v154, v250, v154 quad_perm:[2,2,2,2] row_mask:0xf bank_mask:0xf// 00000001CE48: 0B3534FA FF00AAFA
	v_mul_f32_dpp v155, v250, v155 quad_perm:[3,3,3,3] row_mask:0xf bank_mask:0xf// 00000001CE50: 0B3736FA FF00FFFA
	v_mul_f32_dpp v156, v251, v156 quad_perm:[0,0,0,0] row_mask:0xf bank_mask:0xf// 00000001CE58: 0B3938FA FF0000FB
	v_mul_f32_dpp v157, v251, v157 quad_perm:[1,1,1,1] row_mask:0xf bank_mask:0xf// 00000001CE60: 0B3B3AFA FF0055FB
	v_mul_f32_dpp v158, v251, v158 quad_perm:[2,2,2,2] row_mask:0xf bank_mask:0xf// 00000001CE68: 0B3D3CFA FF00AAFB
	v_mul_f32_dpp v159, v251, v159 quad_perm:[3,3,3,3] row_mask:0xf bank_mask:0xf// 00000001CE70: 0B3F3EFA FF00FFFB
	v_mov_b32_e32 v48, v144                                    // 00000001CE78: 7E600390
	v_max3_f32 v48, v144, v145, v48                            // 00000001CE7C: D1D30030 04C32390
	v_max3_f32 v48, v146, v147, v48                            // 00000001CE84: D1D30030 04C32792
	v_max3_f32 v48, v148, v149, v48                            // 00000001CE8C: D1D30030 04C32B94
	v_max3_f32 v48, v150, v151, v48                            // 00000001CE94: D1D30030 04C32F96
	v_max3_f32 v48, v152, v153, v48                            // 00000001CE9C: D1D30030 04C33398
	v_max3_f32 v48, v154, v155, v48                            // 00000001CEA4: D1D30030 04C3379A
	v_max3_f32 v48, v156, v157, v48                            // 00000001CEAC: D1D30030 04C33B9C
	v_max3_f32 v48, v158, v159, v48                            // 00000001CEB4: D1D30030 04C33F9E
	ds_write_b32 v8, v48 offset:16896                          // 00000001CEBC: D81A4200 00003008
	v_mul_f32_e32 v224, v51, v224                              // 00000001CEC4: 0BC1C133
	v_mul_f32_e32 v225, v51, v225                              // 00000001CEC8: 0BC3C333
	v_mul_f32_e32 v226, v51, v226                              // 00000001CECC: 0BC5C533
	v_mul_f32_e32 v227, v51, v227                              // 00000001CED0: 0BC7C733
	v_mul_f32_e32 v228, v51, v228                              // 00000001CED4: 0BC9C933
	v_mul_f32_e32 v229, v51, v229                              // 00000001CED8: 0BCBCB33
	v_mul_f32_e32 v230, v51, v230                              // 00000001CEDC: 0BCDCD33
	v_mul_f32_e32 v231, v51, v231                              // 00000001CEE0: 0BCFCF33
	s_waitcnt lgkmcnt(0)                                       // 00000001CEE4: BF8CC07F
	s_barrier                                                  // 00000001CEE8: BF8A0000
	ds_read_b32 v64, v7 offset:16896                           // 00000001CEEC: D86C4200 40000007
	ds_read_b32 v65, v7 offset:16960                           // 00000001CEF4: D86C4240 41000007
	ds_read_b32 v66, v7 offset:17024                           // 00000001CEFC: D86C4280 42000007
	ds_read_b32 v67, v7 offset:17088                           // 00000001CF04: D86C42C0 43000007
	ds_read_b32 v68, v7 offset:17152                           // 00000001CF0C: D86C4300 44000007
	ds_read_b32 v69, v7 offset:17216                           // 00000001CF14: D86C4340 45000007
	ds_read_b32 v70, v7 offset:17280                           // 00000001CF1C: D86C4380 46000007
	ds_read_b32 v71, v7 offset:17344                           // 00000001CF24: D86C43C0 47000007
	ds_read_b32 v72, v7 offset:17408                           // 00000001CF2C: D86C4400 48000007
	ds_read_b32 v73, v7 offset:17472                           // 00000001CF34: D86C4440 49000007
	ds_read_b32 v74, v7 offset:17536                           // 00000001CF3C: D86C4480 4A000007
	ds_read_b32 v75, v7 offset:17600                           // 00000001CF44: D86C44C0 4B000007
	ds_read_b32 v76, v7 offset:17664                           // 00000001CF4C: D86C4500 4C000007
	ds_read_b32 v77, v7 offset:17728                           // 00000001CF54: D86C4540 4D000007
	ds_read_b32 v78, v7 offset:17792                           // 00000001CF5C: D86C4580 4E000007
	ds_read_b32 v79, v7 offset:17856                           // 00000001CF64: D86C45C0 4F000007
	v_mul_f32_e32 v192, v46, v192                              // 00000001CF6C: 0B81812E
	v_mul_f32_e32 v193, v46, v193                              // 00000001CF70: 0B83832E
	v_mul_f32_e32 v194, v46, v194                              // 00000001CF74: 0B85852E
	v_mul_f32_e32 v195, v46, v195                              // 00000001CF78: 0B87872E
	v_mul_f32_e32 v196, v46, v196                              // 00000001CF7C: 0B89892E
	v_mul_f32_e32 v197, v46, v197                              // 00000001CF80: 0B8B8B2E
	v_mul_f32_e32 v198, v46, v198                              // 00000001CF84: 0B8D8D2E
	v_mul_f32_e32 v199, v46, v199                              // 00000001CF88: 0B8F8F2E
	s_waitcnt lgkmcnt(0)                                       // 00000001CF8C: BF8CC07F
	v_max3_f32 v48, v64, v65, v48                              // 00000001CF90: D1D30030 04C28340
	v_max3_f32 v48, v66, v67, v48                              // 00000001CF98: D1D30030 04C28742
	v_max3_f32 v48, v68, v69, v48                              // 00000001CFA0: D1D30030 04C28B44
	v_max3_f32 v48, v70, v71, v48                              // 00000001CFA8: D1D30030 04C28F46
	v_max3_f32 v48, v72, v73, v48                              // 00000001CFB0: D1D30030 04C29348
	v_max3_f32 v48, v74, v75, v48                              // 00000001CFB8: D1D30030 04C2974A
	v_max3_f32 v48, v76, v77, v48                              // 00000001CFC0: D1D30030 04C29B4C
	v_max3_f32 v48, v78, v79, v48                              // 00000001CFC8: D1D30030 04C29F4E
	v_mov_b32_e32 v64, 0xff800000                              // 00000001CFD0: 7E8002FF FF800000
	v_cmp_eq_u32_e64 s[40:41], v64, v13                        // 00000001CFD8: D0CA0028 00021B40
	s_nop 1                                                    // 00000001CFE0: BF800001
	v_max_f32_e32 v15, v48, v13                                // 00000001CFE4: 161E1B30
	v_mul_f32_e32 v53, s64, v15                                // 00000001CFE8: 0A6A1E40
	v_fma_f32 v144, v144, s64, -v53                            // 00000001CFEC: D1CB0090 84D48190
	v_fma_f32 v145, v145, s64, -v53                            // 00000001CFF4: D1CB0091 84D48191
	v_fma_f32 v146, v146, s64, -v53                            // 00000001CFFC: D1CB0092 84D48192
	v_fma_f32 v147, v147, s64, -v53                            // 00000001D004: D1CB0093 84D48193
	v_fma_f32 v148, v148, s64, -v53                            // 00000001D00C: D1CB0094 84D48194
	v_fma_f32 v149, v149, s64, -v53                            // 00000001D014: D1CB0095 84D48195
	v_fma_f32 v150, v150, s64, -v53                            // 00000001D01C: D1CB0096 84D48196
	v_fma_f32 v151, v151, s64, -v53                            // 00000001D024: D1CB0097 84D48197
	v_fma_f32 v152, v152, s64, -v53                            // 00000001D02C: D1CB0098 84D48198
	v_fma_f32 v153, v153, s64, -v53                            // 00000001D034: D1CB0099 84D48199
	v_fma_f32 v154, v154, s64, -v53                            // 00000001D03C: D1CB009A 84D4819A
	v_fma_f32 v155, v155, s64, -v53                            // 00000001D044: D1CB009B 84D4819B
	v_fma_f32 v156, v156, s64, -v53                            // 00000001D04C: D1CB009C 84D4819C
	v_fma_f32 v157, v157, s64, -v53                            // 00000001D054: D1CB009D 84D4819D
	v_fma_f32 v158, v158, s64, -v53                            // 00000001D05C: D1CB009E 84D4819E
	v_fma_f32 v159, v159, s64, -v53                            // 00000001D064: D1CB009F 84D4819F
	v_exp_f32_e32 v144, v144                                   // 00000001D06C: 7F204190
	v_exp_f32_e32 v145, v145                                   // 00000001D070: 7F224191
	v_exp_f32_e32 v146, v146                                   // 00000001D074: 7F244192
	v_exp_f32_e32 v147, v147                                   // 00000001D078: 7F264193
	v_exp_f32_e32 v148, v148                                   // 00000001D07C: 7F284194
	v_exp_f32_e32 v149, v149                                   // 00000001D080: 7F2A4195
	v_exp_f32_e32 v150, v150                                   // 00000001D084: 7F2C4196
	v_exp_f32_e32 v151, v151                                   // 00000001D088: 7F2E4197
	v_exp_f32_e32 v152, v152                                   // 00000001D08C: 7F304198
	v_exp_f32_e32 v153, v153                                   // 00000001D090: 7F324199
	v_exp_f32_e32 v154, v154                                   // 00000001D094: 7F34419A
	v_exp_f32_e32 v155, v155                                   // 00000001D098: 7F36419B
	v_exp_f32_e32 v156, v156                                   // 00000001D09C: 7F38419C
	v_exp_f32_e32 v157, v157                                   // 00000001D0A0: 7F3A419D
	v_exp_f32_e32 v158, v158                                   // 00000001D0A4: 7F3C419E
	v_exp_f32_e32 v159, v159                                   // 00000001D0A8: 7F3E419F
	v_mul_f32_dpp v240, v252, v144 quad_perm:[0,0,0,0] row_mask:0xf bank_mask:0xf// 00000001D0AC: 0BE120FA FF0000FC
	v_mul_f32_dpp v241, v252, v145 quad_perm:[1,1,1,1] row_mask:0xf bank_mask:0xf// 00000001D0B4: 0BE322FA FF0055FC
	v_mul_f32_dpp v242, v252, v146 quad_perm:[2,2,2,2] row_mask:0xf bank_mask:0xf// 00000001D0BC: 0BE524FA FF00AAFC
	v_mul_f32_dpp v243, v252, v147 quad_perm:[3,3,3,3] row_mask:0xf bank_mask:0xf// 00000001D0C4: 0BE726FA FF00FFFC
	v_mul_f32_dpp v244, v253, v148 quad_perm:[0,0,0,0] row_mask:0xf bank_mask:0xf// 00000001D0CC: 0BE928FA FF0000FD
	v_mul_f32_dpp v245, v253, v149 quad_perm:[1,1,1,1] row_mask:0xf bank_mask:0xf// 00000001D0D4: 0BEB2AFA FF0055FD
	v_mul_f32_dpp v246, v253, v150 quad_perm:[2,2,2,2] row_mask:0xf bank_mask:0xf// 00000001D0DC: 0BED2CFA FF00AAFD
	v_mul_f32_dpp v247, v253, v151 quad_perm:[3,3,3,3] row_mask:0xf bank_mask:0xf// 00000001D0E4: 0BEF2EFA FF00FFFD
	v_mul_f32_dpp v248, v254, v152 quad_perm:[0,0,0,0] row_mask:0xf bank_mask:0xf// 00000001D0EC: 0BF130FA FF0000FE
	v_mul_f32_dpp v249, v254, v153 quad_perm:[1,1,1,1] row_mask:0xf bank_mask:0xf// 00000001D0F4: 0BF332FA FF0055FE
	v_mul_f32_dpp v250, v254, v154 quad_perm:[2,2,2,2] row_mask:0xf bank_mask:0xf// 00000001D0FC: 0BF534FA FF00AAFE
	v_mul_f32_dpp v251, v254, v155 quad_perm:[3,3,3,3] row_mask:0xf bank_mask:0xf// 00000001D104: 0BF736FA FF00FFFE
	v_mul_f32_dpp v252, v255, v156 quad_perm:[0,0,0,0] row_mask:0xf bank_mask:0xf// 00000001D10C: 0BF938FA FF0000FF
	v_mul_f32_dpp v253, v255, v157 quad_perm:[1,1,1,1] row_mask:0xf bank_mask:0xf// 00000001D114: 0BFB3AFA FF0055FF
	v_mul_f32_dpp v254, v255, v158 quad_perm:[2,2,2,2] row_mask:0xf bank_mask:0xf// 00000001D11C: 0BFD3CFA FF00AAFF
	v_mul_f32_dpp v255, v255, v159 quad_perm:[3,3,3,3] row_mask:0xf bank_mask:0xf// 00000001D124: 0BFF3EFA FF00FFFF
	v_mov_b32_e32 v48, 0x358637bd                              // 00000001D12C: 7E6002FF 358637BD
	v_max3_f32 v48, |v240|, |v241|, v48                        // 00000001D134: D1D30330 04C3E3F0
	v_max3_f32 v48, |v242|, |v243|, v48                        // 00000001D13C: D1D30330 04C3E7F2
	v_max3_f32 v48, |v244|, |v245|, v48                        // 00000001D144: D1D30330 04C3EBF4
	v_max3_f32 v48, |v246|, |v247|, v48                        // 00000001D14C: D1D30330 04C3EFF6
	v_max3_f32 v48, |v248|, |v249|, v48                        // 00000001D154: D1D30330 04C3F3F8
	v_max3_f32 v48, |v250|, |v251|, v48                        // 00000001D15C: D1D30330 04C3F7FA
	v_max3_f32 v48, |v252|, |v253|, v48                        // 00000001D164: D1D30330 04C3FBFC
	v_max3_f32 v48, |v254|, |v255|, v48                        // 00000001D16C: D1D30330 04C3FFFE
	ds_write_b32 v8, v48 offset:20992                          // 00000001D174: D81A5200 00003008
	v_sub_f32_e32 v51, v13, v15                                // 00000001D17C: 04661F0D
	v_cndmask_b32_e64 v51, v51, 0, s[40:41]                    // 00000001D180: D1000033 00A10133
	v_mov_b32_e32 v13, v15                                     // 00000001D188: 7E1A030F
	v_mul_f32_e32 v51, s64, v51                                // 00000001D18C: 0A666640
	v_exp_f32_e32 v51, v51                                     // 00000001D190: 7E664133
	s_waitcnt lgkmcnt(0)                                       // 00000001D194: BF8CC07F
	s_barrier                                                  // 00000001D198: BF8A0000
	ds_read_b32 v64, v7 offset:20992                           // 00000001D19C: D86C5200 40000007
	ds_read_b32 v65, v7 offset:21056                           // 00000001D1A4: D86C5240 41000007
	ds_read_b32 v66, v7 offset:21120                           // 00000001D1AC: D86C5280 42000007
	ds_read_b32 v67, v7 offset:21184                           // 00000001D1B4: D86C52C0 43000007
	ds_read_b32 v68, v7 offset:21248                           // 00000001D1BC: D86C5300 44000007
	ds_read_b32 v69, v7 offset:21312                           // 00000001D1C4: D86C5340 45000007
	ds_read_b32 v70, v7 offset:21376                           // 00000001D1CC: D86C5380 46000007
	ds_read_b32 v71, v7 offset:21440                           // 00000001D1D4: D86C53C0 47000007
	ds_read_b32 v72, v7 offset:21504                           // 00000001D1DC: D86C5400 48000007
	ds_read_b32 v73, v7 offset:21568                           // 00000001D1E4: D86C5440 49000007
	ds_read_b32 v74, v7 offset:21632                           // 00000001D1EC: D86C5480 4A000007
	ds_read_b32 v75, v7 offset:21696                           // 00000001D1F4: D86C54C0 4B000007
	ds_read_b32 v76, v7 offset:21760                           // 00000001D1FC: D86C5500 4C000007
	ds_read_b32 v77, v7 offset:21824                           // 00000001D204: D86C5540 4D000007
	ds_read_b32 v78, v7 offset:21888                           // 00000001D20C: D86C5580 4E000007
	ds_read_b32 v79, v7 offset:21952                           // 00000001D214: D86C55C0 4F000007
	v_mul_f32_e32 v40, v51, v40                                // 00000001D21C: 0A505133
	v_mov_b32_e32 v15, v144                                    // 00000001D220: 7E1E0390
	v_add_f32_e32 v15, v145, v15                               // 00000001D224: 021E1F91
	v_add_f32_e32 v15, v146, v15                               // 00000001D228: 021E1F92
	v_add_f32_e32 v15, v147, v15                               // 00000001D22C: 021E1F93
	v_add_f32_e32 v15, v148, v15                               // 00000001D230: 021E1F94
	v_add_f32_e32 v15, v149, v15                               // 00000001D234: 021E1F95
	v_add_f32_e32 v15, v150, v15                               // 00000001D238: 021E1F96
	v_add_f32_e32 v15, v151, v15                               // 00000001D23C: 021E1F97
	v_add_f32_e32 v15, v152, v15                               // 00000001D240: 021E1F98
	v_add_f32_e32 v15, v153, v15                               // 00000001D244: 021E1F99
	v_add_f32_e32 v15, v154, v15                               // 00000001D248: 021E1F9A
	v_add_f32_e32 v15, v155, v15                               // 00000001D24C: 021E1F9B
	v_add_f32_e32 v15, v156, v15                               // 00000001D250: 021E1F9C
	v_add_f32_e32 v15, v157, v15                               // 00000001D254: 021E1F9D
	v_add_f32_e32 v15, v158, v15                               // 00000001D258: 021E1F9E
	v_add_f32_e32 v15, v159, v15                               // 00000001D25C: 021E1F9F
	v_add_f32_e32 v40, v15, v40                                // 00000001D260: 0250510F
	s_waitcnt lgkmcnt(0)                                       // 00000001D264: BF8CC07F
	v_max3_f32 v48, |v64|, |v65|, v48                          // 00000001D268: D1D30330 04C28340
	v_max3_f32 v48, |v66|, |v67|, v48                          // 00000001D270: D1D30330 04C28742
	v_max3_f32 v48, |v68|, |v69|, v48                          // 00000001D278: D1D30330 04C28B44
	v_max3_f32 v48, |v70|, |v71|, v48                          // 00000001D280: D1D30330 04C28F46
	v_max3_f32 v48, |v72|, |v73|, v48                          // 00000001D288: D1D30330 04C29348
	v_max3_f32 v48, |v74|, |v75|, v48                          // 00000001D290: D1D30330 04C2974A
	v_max3_f32 v48, |v76|, |v77|, v48                          // 00000001D298: D1D30330 04C29B4C
	v_max3_f32 v48, |v78|, |v79|, v48                          // 00000001D2A0: D1D30330 04C29F4E
	s_nop 2                                                    // 00000001D2A8: BF800002
	v_rcp_f32_e32 v48, v48                                     // 00000001D2AC: 7E604530
	s_nop 1                                                    // 00000001D2B0: BF800001
	v_mul_f32_e32 v48, 0x43e00000, v48                         // 00000001D2B4: 0A6060FF 43E00000
	v_mul_f32_e32 v144, v48, v240                              // 00000001D2BC: 0B21E130
	v_mul_f32_e32 v145, v48, v241                              // 00000001D2C0: 0B23E330
	v_mul_f32_e32 v146, v48, v242                              // 00000001D2C4: 0B25E530
	v_mul_f32_e32 v147, v48, v243                              // 00000001D2C8: 0B27E730
	v_mul_f32_e32 v148, v48, v244                              // 00000001D2CC: 0B29E930
	v_mul_f32_e32 v149, v48, v245                              // 00000001D2D0: 0B2BEB30
	v_mul_f32_e32 v150, v48, v246                              // 00000001D2D4: 0B2DED30
	v_mul_f32_e32 v151, v48, v247                              // 00000001D2D8: 0B2FEF30
	v_mul_f32_e32 v152, v48, v248                              // 00000001D2DC: 0B31F130
	v_mul_f32_e32 v153, v48, v249                              // 00000001D2E0: 0B33F330
	v_mul_f32_e32 v154, v48, v250                              // 00000001D2E4: 0B35F530
	v_mul_f32_e32 v155, v48, v251                              // 00000001D2E8: 0B37F730
	v_mul_f32_e32 v156, v48, v252                              // 00000001D2EC: 0B39F930
	v_mul_f32_e32 v157, v48, v253                              // 00000001D2F0: 0B3BFB30
	v_mul_f32_e32 v158, v48, v254                              // 00000001D2F4: 0B3DFD30
	v_mul_f32_e32 v159, v48, v255                              // 00000001D2F8: 0B3FFF30
	v_cvt_pk_fp8_f32 v144, v144, v145                          // 00000001D2FC: D2A20090 00032390
	v_cvt_pk_fp8_f32 v144, v146, v147 op_sel:[0,0,1]           // 00000001D304: D2A24090 00032792
	v_cvt_pk_fp8_f32 v145, v148, v149                          // 00000001D30C: D2A20091 00032B94
	v_cvt_pk_fp8_f32 v145, v150, v151 op_sel:[0,0,1]           // 00000001D314: D2A24091 00032F96
	v_cvt_pk_fp8_f32 v146, v152, v153                          // 00000001D31C: D2A20092 00033398
	v_cvt_pk_fp8_f32 v146, v154, v155 op_sel:[0,0,1]           // 00000001D324: D2A24092 0003379A
	v_cvt_pk_fp8_f32 v147, v156, v157                          // 00000001D32C: D2A20093 00033B9C
	v_cvt_pk_fp8_f32 v147, v158, v159 op_sel:[0,0,1]           // 00000001D334: D2A24093 00033F9E
	ds_write_b32 v10, v144 offset:33280                        // 00000001D33C: D81A8200 0000900A
	ds_write_b32 v10, v145 offset:34304                        // 00000001D344: D81A8600 0000910A
	ds_write_b32 v10, v146 offset:35328                        // 00000001D34C: D81A8A00 0000920A
	ds_write_b32 v10, v147 offset:36352                        // 00000001D354: D81A8E00 0000930A
	v_add_f32_e32 v224, v224, v192                             // 00000001D35C: 03C181E0
	v_add_f32_e32 v225, v225, v193                             // 00000001D360: 03C383E1
	v_add_f32_e32 v226, v226, v194                             // 00000001D364: 03C585E2
	v_add_f32_e32 v227, v227, v195                             // 00000001D368: 03C787E3
	v_add_f32_e32 v228, v228, v196                             // 00000001D36C: 03C989E4
	v_add_f32_e32 v229, v229, v197                             // 00000001D370: 03CB8BE5
	v_add_f32_e32 v230, v230, v198                             // 00000001D374: 03CD8DE6
	v_add_f32_e32 v231, v231, v199                             // 00000001D378: 03CF8FE7
	v_rcp_f32_e32 v46, v48                                     // 00000001D37C: 7E5C4530
	s_waitcnt lgkmcnt(0)                                       // 00000001D380: BF8CC07F
	s_barrier                                                  // 00000001D384: BF8A0000
	ds_read_b64 v[144:145], v9 offset:33280                    // 00000001D388: D8EC8200 90000009
	ds_read_b64 v[146:147], v9 offset:33408                    // 00000001D390: D8EC8280 92000009
	ds_read_b64 v[148:149], v9 offset:34304                    // 00000001D398: D8EC8600 94000009
	ds_read_b64 v[150:151], v9 offset:34432                    // 00000001D3A0: D8EC8680 96000009
	ds_read_b64 v[152:153], v9 offset:35328                    // 00000001D3A8: D8EC8A00 98000009
	ds_read_b64 v[154:155], v9 offset:35456                    // 00000001D3B0: D8EC8A80 9A000009
	ds_read_b64 v[156:157], v9 offset:36352                    // 00000001D3B8: D8EC8E00 9C000009
	ds_read_b64 v[158:159], v9 offset:36480                    // 00000001D3C0: D8EC8E80 9E000009
	v_mov_b32_dpp v64, v43 row_shr:4 row_mask:0xf bank_mask:0xf// 00000001D3C8: 7E8002FA FF01142B
	v_mov_b32_dpp v65, v43 row_shl:4 row_mask:0xf bank_mask:0xf// 00000001D3D0: 7E8202FA FF01042B
	v_cndmask_b32_e64 v248, v43, v64, s[44:45]                 // 00000001D3D8: D10000F8 00B2812B
	v_cndmask_b32_e64 v249, v65, v43, s[44:45]                 // 00000001D3E0: D10000F9 00B25741
	v_mov_b32_dpp v64, v248 row_shr:8 row_mask:0xf bank_mask:0xf// 00000001D3E8: 7E8002FA FF0118F8
	v_mov_b32_dpp v65, v248 row_shl:8 row_mask:0xf bank_mask:0xf// 00000001D3F0: 7E8202FA FF0108F8
	v_mov_b32_dpp v66, v249 row_shr:8 row_mask:0xf bank_mask:0xf// 00000001D3F8: 7E8402FA FF0118F9
	v_mov_b32_dpp v67, v249 row_shl:8 row_mask:0xf bank_mask:0xf// 00000001D400: 7E8602FA FF0108F9
	v_mov_b32_e32 v68, v248                                    // 00000001D408: 7E8803F8
	v_mov_b32_e32 v69, v249                                    // 00000001D40C: 7E8A03F9
	v_cndmask_b32_e64 v248, v68, v64, s[42:43]                 // 00000001D410: D10000F8 00AA8144
	v_cndmask_b32_e64 v250, v68, v65, s[78:79]                 // 00000001D418: D10000FA 013A8344
	v_cndmask_b32_e64 v249, v69, v66, s[42:43]                 // 00000001D420: D10000F9 00AA8545
	v_cndmask_b32_e64 v251, v69, v67, s[78:79]                 // 00000001D428: D10000FB 013A8745
	v_mov_b32_dpp v64, v58 row_shr:4 row_mask:0xf bank_mask:0xf// 00000001D430: 7E8002FA FF01143A
	v_mov_b32_dpp v65, v58 row_shl:4 row_mask:0xf bank_mask:0xf// 00000001D438: 7E8202FA FF01043A
	v_cndmask_b32_e64 v252, v58, v64, s[44:45]                 // 00000001D440: D10000FC 00B2813A
	v_cndmask_b32_e64 v253, v65, v58, s[44:45]                 // 00000001D448: D10000FD 00B27541
	v_mov_b32_dpp v64, v252 row_shr:8 row_mask:0xf bank_mask:0xf// 00000001D450: 7E8002FA FF0118FC
	v_mov_b32_dpp v65, v252 row_shl:8 row_mask:0xf bank_mask:0xf// 00000001D458: 7E8202FA FF0108FC
	v_mov_b32_dpp v66, v253 row_shr:8 row_mask:0xf bank_mask:0xf// 00000001D460: 7E8402FA FF0118FD
	v_mov_b32_dpp v67, v253 row_shl:8 row_mask:0xf bank_mask:0xf// 00000001D468: 7E8602FA FF0108FD
	v_mov_b32_e32 v68, v252                                    // 00000001D470: 7E8803FC
	v_mov_b32_e32 v69, v253                                    // 00000001D474: 7E8A03FD
	v_cndmask_b32_e64 v252, v68, v64, s[42:43]                 // 00000001D478: D10000FC 00AA8144
	v_cndmask_b32_e64 v254, v68, v65, s[78:79]                 // 00000001D480: D10000FE 013A8344
	v_cndmask_b32_e64 v253, v69, v66, s[42:43]                 // 00000001D488: D10000FD 00AA8545
	v_cndmask_b32_e64 v255, v69, v67, s[78:79]                 // 00000001D490: D10000FF 013A8745
	v_mul_f32_e32 v160, v21, v160                              // 00000001D498: 0B414115
	v_mul_f32_e32 v161, v21, v161                              // 00000001D49C: 0B434315
	v_mul_f32_e32 v162, v21, v162                              // 00000001D4A0: 0B454515
	v_mul_f32_e32 v163, v21, v163                              // 00000001D4A4: 0B474715
	v_mul_f32_e32 v164, v21, v164                              // 00000001D4A8: 0B494915
	v_mul_f32_e32 v165, v21, v165                              // 00000001D4AC: 0B4B4B15
	v_mul_f32_e32 v166, v21, v166                              // 00000001D4B0: 0B4D4D15
	v_mul_f32_e32 v167, v21, v167                              // 00000001D4B4: 0B4F4F15
	v_mul_f32_e32 v168, v21, v168                              // 00000001D4B8: 0B515115
	v_mul_f32_e32 v169, v21, v169                              // 00000001D4BC: 0B535315
	v_mul_f32_e32 v170, v21, v170                              // 00000001D4C0: 0B555515
	v_mul_f32_e32 v171, v21, v171                              // 00000001D4C4: 0B575715
	v_mul_f32_e32 v172, v21, v172                              // 00000001D4C8: 0B595915
	v_mul_f32_e32 v173, v21, v173                              // 00000001D4CC: 0B5B5B15
	v_mul_f32_e32 v174, v21, v174                              // 00000001D4D0: 0B5D5D15
	v_mul_f32_e32 v175, v21, v175                              // 00000001D4D4: 0B5F5F15
	v_mul_f32_dpp v160, v248, v160 quad_perm:[0,0,0,0] row_mask:0xf bank_mask:0xf// 00000001D4D8: 0B4140FA FF0000F8
	v_mul_f32_dpp v161, v248, v161 quad_perm:[1,1,1,1] row_mask:0xf bank_mask:0xf// 00000001D4E0: 0B4342FA FF0055F8
	v_mul_f32_dpp v162, v248, v162 quad_perm:[2,2,2,2] row_mask:0xf bank_mask:0xf// 00000001D4E8: 0B4544FA FF00AAF8
	v_mul_f32_dpp v163, v248, v163 quad_perm:[3,3,3,3] row_mask:0xf bank_mask:0xf// 00000001D4F0: 0B4746FA FF00FFF8
	v_mul_f32_dpp v164, v249, v164 quad_perm:[0,0,0,0] row_mask:0xf bank_mask:0xf// 00000001D4F8: 0B4948FA FF0000F9
	v_mul_f32_dpp v165, v249, v165 quad_perm:[1,1,1,1] row_mask:0xf bank_mask:0xf// 00000001D500: 0B4B4AFA FF0055F9
	v_mul_f32_dpp v166, v249, v166 quad_perm:[2,2,2,2] row_mask:0xf bank_mask:0xf// 00000001D508: 0B4D4CFA FF00AAF9
	v_mul_f32_dpp v167, v249, v167 quad_perm:[3,3,3,3] row_mask:0xf bank_mask:0xf// 00000001D510: 0B4F4EFA FF00FFF9
	v_mul_f32_dpp v168, v250, v168 quad_perm:[0,0,0,0] row_mask:0xf bank_mask:0xf// 00000001D518: 0B5150FA FF0000FA
	v_mul_f32_dpp v169, v250, v169 quad_perm:[1,1,1,1] row_mask:0xf bank_mask:0xf// 00000001D520: 0B5352FA FF0055FA
	v_mul_f32_dpp v170, v250, v170 quad_perm:[2,2,2,2] row_mask:0xf bank_mask:0xf// 00000001D528: 0B5554FA FF00AAFA
	v_mul_f32_dpp v171, v250, v171 quad_perm:[3,3,3,3] row_mask:0xf bank_mask:0xf// 00000001D530: 0B5756FA FF00FFFA
	v_mul_f32_dpp v172, v251, v172 quad_perm:[0,0,0,0] row_mask:0xf bank_mask:0xf// 00000001D538: 0B5958FA FF0000FB
	v_mul_f32_dpp v173, v251, v173 quad_perm:[1,1,1,1] row_mask:0xf bank_mask:0xf// 00000001D540: 0B5B5AFA FF0055FB
	v_mul_f32_dpp v174, v251, v174 quad_perm:[2,2,2,2] row_mask:0xf bank_mask:0xf// 00000001D548: 0B5D5CFA FF00AAFB
	v_mul_f32_dpp v175, v251, v175 quad_perm:[3,3,3,3] row_mask:0xf bank_mask:0xf// 00000001D550: 0B5F5EFA FF00FFFB
	v_mov_b32_e32 v48, v160                                    // 00000001D558: 7E6003A0
	v_max3_f32 v48, v160, v161, v48                            // 00000001D55C: D1D30030 04C343A0
	v_max3_f32 v48, v162, v163, v48                            // 00000001D564: D1D30030 04C347A2
	v_max3_f32 v48, v164, v165, v48                            // 00000001D56C: D1D30030 04C34BA4
	v_max3_f32 v48, v166, v167, v48                            // 00000001D574: D1D30030 04C34FA6
	v_max3_f32 v48, v168, v169, v48                            // 00000001D57C: D1D30030 04C353A8
	v_max3_f32 v48, v170, v171, v48                            // 00000001D584: D1D30030 04C357AA
	v_max3_f32 v48, v172, v173, v48                            // 00000001D58C: D1D30030 04C35BAC
	v_max3_f32 v48, v174, v175, v48                            // 00000001D594: D1D30030 04C35FAE
	ds_write_b32 v8, v48 offset:16896                          // 00000001D59C: D81A4200 00003008
	v_mul_f32_e32 v232, v52, v232                              // 00000001D5A4: 0BD1D134
	v_mul_f32_e32 v233, v52, v233                              // 00000001D5A8: 0BD3D334
	v_mul_f32_e32 v234, v52, v234                              // 00000001D5AC: 0BD5D534
	v_mul_f32_e32 v235, v52, v235                              // 00000001D5B0: 0BD7D734
	v_mul_f32_e32 v236, v52, v236                              // 00000001D5B4: 0BD9D934
	v_mul_f32_e32 v237, v52, v237                              // 00000001D5B8: 0BDBDB34
	v_mul_f32_e32 v238, v52, v238                              // 00000001D5BC: 0BDDDD34
	v_mul_f32_e32 v239, v52, v239                              // 00000001D5C0: 0BDFDF34
	s_waitcnt lgkmcnt(0)                                       // 00000001D5C4: BF8CC07F
	s_barrier                                                  // 00000001D5C8: BF8A0000
	ds_read_b32 v64, v7 offset:16896                           // 00000001D5CC: D86C4200 40000007
	ds_read_b32 v65, v7 offset:16960                           // 00000001D5D4: D86C4240 41000007
	ds_read_b32 v66, v7 offset:17024                           // 00000001D5DC: D86C4280 42000007
	ds_read_b32 v67, v7 offset:17088                           // 00000001D5E4: D86C42C0 43000007
	ds_read_b32 v68, v7 offset:17152                           // 00000001D5EC: D86C4300 44000007
	ds_read_b32 v69, v7 offset:17216                           // 00000001D5F4: D86C4340 45000007
	ds_read_b32 v70, v7 offset:17280                           // 00000001D5FC: D86C4380 46000007
	ds_read_b32 v71, v7 offset:17344                           // 00000001D604: D86C43C0 47000007
	ds_read_b32 v72, v7 offset:17408                           // 00000001D60C: D86C4400 48000007
	ds_read_b32 v73, v7 offset:17472                           // 00000001D614: D86C4440 49000007
	ds_read_b32 v74, v7 offset:17536                           // 00000001D61C: D86C4480 4A000007
	ds_read_b32 v75, v7 offset:17600                           // 00000001D624: D86C44C0 4B000007
	ds_read_b32 v76, v7 offset:17664                           // 00000001D62C: D86C4500 4C000007
	ds_read_b32 v77, v7 offset:17728                           // 00000001D634: D86C4540 4D000007
	ds_read_b32 v78, v7 offset:17792                           // 00000001D63C: D86C4580 4E000007
	ds_read_b32 v79, v7 offset:17856                           // 00000001D644: D86C45C0 4F000007
	v_mul_f32_e32 v200, v47, v200                              // 00000001D64C: 0B91912F
	v_mul_f32_e32 v201, v47, v201                              // 00000001D650: 0B93932F
	v_mul_f32_e32 v202, v47, v202                              // 00000001D654: 0B95952F
	v_mul_f32_e32 v203, v47, v203                              // 00000001D658: 0B97972F
	v_mul_f32_e32 v204, v47, v204                              // 00000001D65C: 0B99992F
	v_mul_f32_e32 v205, v47, v205                              // 00000001D660: 0B9B9B2F
	v_mul_f32_e32 v206, v47, v206                              // 00000001D664: 0B9D9D2F
	v_mul_f32_e32 v207, v47, v207                              // 00000001D668: 0B9F9F2F
	s_waitcnt lgkmcnt(0)                                       // 00000001D66C: BF8CC07F
	v_max3_f32 v48, v64, v65, v48                              // 00000001D670: D1D30030 04C28340
	v_max3_f32 v48, v66, v67, v48                              // 00000001D678: D1D30030 04C28742
	v_max3_f32 v48, v68, v69, v48                              // 00000001D680: D1D30030 04C28B44
	v_max3_f32 v48, v70, v71, v48                              // 00000001D688: D1D30030 04C28F46
	v_max3_f32 v48, v72, v73, v48                              // 00000001D690: D1D30030 04C29348
	v_max3_f32 v48, v74, v75, v48                              // 00000001D698: D1D30030 04C2974A
	v_max3_f32 v48, v76, v77, v48                              // 00000001D6A0: D1D30030 04C29B4C
	v_max3_f32 v48, v78, v79, v48                              // 00000001D6A8: D1D30030 04C29F4E
	v_mov_b32_e32 v64, 0xff800000                              // 00000001D6B0: 7E8002FF FF800000
	v_cmp_eq_u32_e64 s[40:41], v64, v14                        // 00000001D6B8: D0CA0028 00021D40
	s_nop 1                                                    // 00000001D6C0: BF800001
	v_max_f32_e32 v15, v48, v14                                // 00000001D6C4: 161E1D30
	v_mul_f32_e32 v53, s64, v15                                // 00000001D6C8: 0A6A1E40
	v_fma_f32 v160, v160, s64, -v53                            // 00000001D6CC: D1CB00A0 84D481A0
	v_fma_f32 v161, v161, s64, -v53                            // 00000001D6D4: D1CB00A1 84D481A1
	v_fma_f32 v162, v162, s64, -v53                            // 00000001D6DC: D1CB00A2 84D481A2
	v_fma_f32 v163, v163, s64, -v53                            // 00000001D6E4: D1CB00A3 84D481A3
	v_fma_f32 v164, v164, s64, -v53                            // 00000001D6EC: D1CB00A4 84D481A4
	v_fma_f32 v165, v165, s64, -v53                            // 00000001D6F4: D1CB00A5 84D481A5
	v_fma_f32 v166, v166, s64, -v53                            // 00000001D6FC: D1CB00A6 84D481A6
	v_fma_f32 v167, v167, s64, -v53                            // 00000001D704: D1CB00A7 84D481A7
	v_fma_f32 v168, v168, s64, -v53                            // 00000001D70C: D1CB00A8 84D481A8
	v_fma_f32 v169, v169, s64, -v53                            // 00000001D714: D1CB00A9 84D481A9
	v_fma_f32 v170, v170, s64, -v53                            // 00000001D71C: D1CB00AA 84D481AA
	v_fma_f32 v171, v171, s64, -v53                            // 00000001D724: D1CB00AB 84D481AB
	v_fma_f32 v172, v172, s64, -v53                            // 00000001D72C: D1CB00AC 84D481AC
	v_fma_f32 v173, v173, s64, -v53                            // 00000001D734: D1CB00AD 84D481AD
	v_fma_f32 v174, v174, s64, -v53                            // 00000001D73C: D1CB00AE 84D481AE
	v_fma_f32 v175, v175, s64, -v53                            // 00000001D744: D1CB00AF 84D481AF
	v_exp_f32_e32 v160, v160                                   // 00000001D74C: 7F4041A0
	v_exp_f32_e32 v161, v161                                   // 00000001D750: 7F4241A1
	v_exp_f32_e32 v162, v162                                   // 00000001D754: 7F4441A2
	v_exp_f32_e32 v163, v163                                   // 00000001D758: 7F4641A3
	v_exp_f32_e32 v164, v164                                   // 00000001D75C: 7F4841A4
	v_exp_f32_e32 v165, v165                                   // 00000001D760: 7F4A41A5
	v_exp_f32_e32 v166, v166                                   // 00000001D764: 7F4C41A6
	v_exp_f32_e32 v167, v167                                   // 00000001D768: 7F4E41A7
	v_exp_f32_e32 v168, v168                                   // 00000001D76C: 7F5041A8
	v_exp_f32_e32 v169, v169                                   // 00000001D770: 7F5241A9
	v_exp_f32_e32 v170, v170                                   // 00000001D774: 7F5441AA
	v_exp_f32_e32 v171, v171                                   // 00000001D778: 7F5641AB
	v_exp_f32_e32 v172, v172                                   // 00000001D77C: 7F5841AC
	v_exp_f32_e32 v173, v173                                   // 00000001D780: 7F5A41AD
	v_exp_f32_e32 v174, v174                                   // 00000001D784: 7F5C41AE
	v_exp_f32_e32 v175, v175                                   // 00000001D788: 7F5E41AF
	v_mul_f32_dpp v240, v252, v160 quad_perm:[0,0,0,0] row_mask:0xf bank_mask:0xf// 00000001D78C: 0BE140FA FF0000FC
	v_mul_f32_dpp v241, v252, v161 quad_perm:[1,1,1,1] row_mask:0xf bank_mask:0xf// 00000001D794: 0BE342FA FF0055FC
	v_mul_f32_dpp v242, v252, v162 quad_perm:[2,2,2,2] row_mask:0xf bank_mask:0xf// 00000001D79C: 0BE544FA FF00AAFC
	v_mul_f32_dpp v243, v252, v163 quad_perm:[3,3,3,3] row_mask:0xf bank_mask:0xf// 00000001D7A4: 0BE746FA FF00FFFC
	v_mul_f32_dpp v244, v253, v164 quad_perm:[0,0,0,0] row_mask:0xf bank_mask:0xf// 00000001D7AC: 0BE948FA FF0000FD
	v_mul_f32_dpp v245, v253, v165 quad_perm:[1,1,1,1] row_mask:0xf bank_mask:0xf// 00000001D7B4: 0BEB4AFA FF0055FD
	v_mul_f32_dpp v246, v253, v166 quad_perm:[2,2,2,2] row_mask:0xf bank_mask:0xf// 00000001D7BC: 0BED4CFA FF00AAFD
	v_mul_f32_dpp v247, v253, v167 quad_perm:[3,3,3,3] row_mask:0xf bank_mask:0xf// 00000001D7C4: 0BEF4EFA FF00FFFD
	v_mul_f32_dpp v248, v254, v168 quad_perm:[0,0,0,0] row_mask:0xf bank_mask:0xf// 00000001D7CC: 0BF150FA FF0000FE
	v_mul_f32_dpp v249, v254, v169 quad_perm:[1,1,1,1] row_mask:0xf bank_mask:0xf// 00000001D7D4: 0BF352FA FF0055FE
	v_mul_f32_dpp v250, v254, v170 quad_perm:[2,2,2,2] row_mask:0xf bank_mask:0xf// 00000001D7DC: 0BF554FA FF00AAFE
	v_mul_f32_dpp v251, v254, v171 quad_perm:[3,3,3,3] row_mask:0xf bank_mask:0xf// 00000001D7E4: 0BF756FA FF00FFFE
	v_mul_f32_dpp v252, v255, v172 quad_perm:[0,0,0,0] row_mask:0xf bank_mask:0xf// 00000001D7EC: 0BF958FA FF0000FF
	v_mul_f32_dpp v253, v255, v173 quad_perm:[1,1,1,1] row_mask:0xf bank_mask:0xf// 00000001D7F4: 0BFB5AFA FF0055FF
	v_mul_f32_dpp v254, v255, v174 quad_perm:[2,2,2,2] row_mask:0xf bank_mask:0xf// 00000001D7FC: 0BFD5CFA FF00AAFF
	v_mul_f32_dpp v255, v255, v175 quad_perm:[3,3,3,3] row_mask:0xf bank_mask:0xf// 00000001D804: 0BFF5EFA FF00FFFF
	v_mov_b32_e32 v48, 0x358637bd                              // 00000001D80C: 7E6002FF 358637BD
	v_max3_f32 v48, |v240|, |v241|, v48                        // 00000001D814: D1D30330 04C3E3F0
	v_max3_f32 v48, |v242|, |v243|, v48                        // 00000001D81C: D1D30330 04C3E7F2
	v_max3_f32 v48, |v244|, |v245|, v48                        // 00000001D824: D1D30330 04C3EBF4
	v_max3_f32 v48, |v246|, |v247|, v48                        // 00000001D82C: D1D30330 04C3EFF6
	v_max3_f32 v48, |v248|, |v249|, v48                        // 00000001D834: D1D30330 04C3F3F8
	v_max3_f32 v48, |v250|, |v251|, v48                        // 00000001D83C: D1D30330 04C3F7FA
	v_max3_f32 v48, |v252|, |v253|, v48                        // 00000001D844: D1D30330 04C3FBFC
	v_max3_f32 v48, |v254|, |v255|, v48                        // 00000001D84C: D1D30330 04C3FFFE
	ds_write_b32 v8, v48 offset:20992                          // 00000001D854: D81A5200 00003008
	v_sub_f32_e32 v52, v14, v15                                // 00000001D85C: 04681F0E
	v_cndmask_b32_e64 v52, v52, 0, s[40:41]                    // 00000001D860: D1000034 00A10134
	v_mov_b32_e32 v14, v15                                     // 00000001D868: 7E1C030F
	v_mul_f32_e32 v52, s64, v52                                // 00000001D86C: 0A686840
	v_exp_f32_e32 v52, v52                                     // 00000001D870: 7E684134
	s_waitcnt lgkmcnt(0)                                       // 00000001D874: BF8CC07F
	s_barrier                                                  // 00000001D878: BF8A0000
	ds_read_b32 v64, v7 offset:20992                           // 00000001D87C: D86C5200 40000007
	ds_read_b32 v65, v7 offset:21056                           // 00000001D884: D86C5240 41000007
	ds_read_b32 v66, v7 offset:21120                           // 00000001D88C: D86C5280 42000007
	ds_read_b32 v67, v7 offset:21184                           // 00000001D894: D86C52C0 43000007
	ds_read_b32 v68, v7 offset:21248                           // 00000001D89C: D86C5300 44000007
	ds_read_b32 v69, v7 offset:21312                           // 00000001D8A4: D86C5340 45000007
	ds_read_b32 v70, v7 offset:21376                           // 00000001D8AC: D86C5380 46000007
	ds_read_b32 v71, v7 offset:21440                           // 00000001D8B4: D86C53C0 47000007
	ds_read_b32 v72, v7 offset:21504                           // 00000001D8BC: D86C5400 48000007
	ds_read_b32 v73, v7 offset:21568                           // 00000001D8C4: D86C5440 49000007
	ds_read_b32 v74, v7 offset:21632                           // 00000001D8CC: D86C5480 4A000007
	ds_read_b32 v75, v7 offset:21696                           // 00000001D8D4: D86C54C0 4B000007
	ds_read_b32 v76, v7 offset:21760                           // 00000001D8DC: D86C5500 4C000007
	ds_read_b32 v77, v7 offset:21824                           // 00000001D8E4: D86C5540 4D000007
	ds_read_b32 v78, v7 offset:21888                           // 00000001D8EC: D86C5580 4E000007
	ds_read_b32 v79, v7 offset:21952                           // 00000001D8F4: D86C55C0 4F000007
	v_mul_f32_e32 v41, v52, v41                                // 00000001D8FC: 0A525334
	v_mov_b32_e32 v15, v160                                    // 00000001D900: 7E1E03A0
	v_add_f32_e32 v15, v161, v15                               // 00000001D904: 021E1FA1
	v_add_f32_e32 v15, v162, v15                               // 00000001D908: 021E1FA2
	v_add_f32_e32 v15, v163, v15                               // 00000001D90C: 021E1FA3
	v_add_f32_e32 v15, v164, v15                               // 00000001D910: 021E1FA4
	v_add_f32_e32 v15, v165, v15                               // 00000001D914: 021E1FA5
	v_add_f32_e32 v15, v166, v15                               // 00000001D918: 021E1FA6
	v_add_f32_e32 v15, v167, v15                               // 00000001D91C: 021E1FA7
	v_add_f32_e32 v15, v168, v15                               // 00000001D920: 021E1FA8
	v_add_f32_e32 v15, v169, v15                               // 00000001D924: 021E1FA9
	v_add_f32_e32 v15, v170, v15                               // 00000001D928: 021E1FAA
	v_add_f32_e32 v15, v171, v15                               // 00000001D92C: 021E1FAB
	v_add_f32_e32 v15, v172, v15                               // 00000001D930: 021E1FAC
	v_add_f32_e32 v15, v173, v15                               // 00000001D934: 021E1FAD
	v_add_f32_e32 v15, v174, v15                               // 00000001D938: 021E1FAE
	v_add_f32_e32 v15, v175, v15                               // 00000001D93C: 021E1FAF
	v_add_f32_e32 v41, v15, v41                                // 00000001D940: 0252530F
	s_waitcnt lgkmcnt(0)                                       // 00000001D944: BF8CC07F
	v_max3_f32 v48, |v64|, |v65|, v48                          // 00000001D948: D1D30330 04C28340
	v_max3_f32 v48, |v66|, |v67|, v48                          // 00000001D950: D1D30330 04C28742
	v_max3_f32 v48, |v68|, |v69|, v48                          // 00000001D958: D1D30330 04C28B44
	v_max3_f32 v48, |v70|, |v71|, v48                          // 00000001D960: D1D30330 04C28F46
	v_max3_f32 v48, |v72|, |v73|, v48                          // 00000001D968: D1D30330 04C29348
	v_max3_f32 v48, |v74|, |v75|, v48                          // 00000001D970: D1D30330 04C2974A
	v_max3_f32 v48, |v76|, |v77|, v48                          // 00000001D978: D1D30330 04C29B4C
	v_max3_f32 v48, |v78|, |v79|, v48                          // 00000001D980: D1D30330 04C29F4E
	s_nop 2                                                    // 00000001D988: BF800002
	v_rcp_f32_e32 v48, v48                                     // 00000001D98C: 7E604530
	s_nop 1                                                    // 00000001D990: BF800001
	v_mul_f32_e32 v48, 0x43e00000, v48                         // 00000001D994: 0A6060FF 43E00000
	v_mul_f32_e32 v160, v48, v240                              // 00000001D99C: 0B41E130
	v_mul_f32_e32 v161, v48, v241                              // 00000001D9A0: 0B43E330
	v_mul_f32_e32 v162, v48, v242                              // 00000001D9A4: 0B45E530
	v_mul_f32_e32 v163, v48, v243                              // 00000001D9A8: 0B47E730
	v_mul_f32_e32 v164, v48, v244                              // 00000001D9AC: 0B49E930
	v_mul_f32_e32 v165, v48, v245                              // 00000001D9B0: 0B4BEB30
	v_mul_f32_e32 v166, v48, v246                              // 00000001D9B4: 0B4DED30
	v_mul_f32_e32 v167, v48, v247                              // 00000001D9B8: 0B4FEF30
	v_mul_f32_e32 v168, v48, v248                              // 00000001D9BC: 0B51F130
	v_mul_f32_e32 v169, v48, v249                              // 00000001D9C0: 0B53F330
	v_mul_f32_e32 v170, v48, v250                              // 00000001D9C4: 0B55F530
	v_mul_f32_e32 v171, v48, v251                              // 00000001D9C8: 0B57F730
	v_mul_f32_e32 v172, v48, v252                              // 00000001D9CC: 0B59F930
	v_mul_f32_e32 v173, v48, v253                              // 00000001D9D0: 0B5BFB30
	v_mul_f32_e32 v174, v48, v254                              // 00000001D9D4: 0B5DFD30
	v_mul_f32_e32 v175, v48, v255                              // 00000001D9D8: 0B5FFF30
	v_cvt_pk_fp8_f32 v160, v160, v161                          // 00000001D9DC: D2A200A0 000343A0
	v_cvt_pk_fp8_f32 v160, v162, v163 op_sel:[0,0,1]           // 00000001D9E4: D2A240A0 000347A2
	v_cvt_pk_fp8_f32 v161, v164, v165                          // 00000001D9EC: D2A200A1 00034BA4
	v_cvt_pk_fp8_f32 v161, v166, v167 op_sel:[0,0,1]           // 00000001D9F4: D2A240A1 00034FA6
	v_cvt_pk_fp8_f32 v162, v168, v169                          // 00000001D9FC: D2A200A2 000353A8
	v_cvt_pk_fp8_f32 v162, v170, v171 op_sel:[0,0,1]           // 00000001DA04: D2A240A2 000357AA
	v_cvt_pk_fp8_f32 v163, v172, v173                          // 00000001DA0C: D2A200A3 00035BAC
	v_cvt_pk_fp8_f32 v163, v174, v175 op_sel:[0,0,1]           // 00000001DA14: D2A240A3 00035FAE
	ds_write_b32 v10, v160 offset:37376                        // 00000001DA1C: D81A9200 0000A00A
	ds_write_b32 v10, v161 offset:38400                        // 00000001DA24: D81A9600 0000A10A
	ds_write_b32 v10, v162 offset:39424                        // 00000001DA2C: D81A9A00 0000A20A
	ds_write_b32 v10, v163 offset:40448                        // 00000001DA34: D81A9E00 0000A30A
	v_add_f32_e32 v232, v232, v200                             // 00000001DA3C: 03D191E8
	v_add_f32_e32 v233, v233, v201                             // 00000001DA40: 03D393E9
	v_add_f32_e32 v234, v234, v202                             // 00000001DA44: 03D595EA
	v_add_f32_e32 v235, v235, v203                             // 00000001DA48: 03D797EB
	v_add_f32_e32 v236, v236, v204                             // 00000001DA4C: 03D999EC
	v_add_f32_e32 v237, v237, v205                             // 00000001DA50: 03DB9BED
	v_add_f32_e32 v238, v238, v206                             // 00000001DA54: 03DD9DEE
	v_add_f32_e32 v239, v239, v207                             // 00000001DA58: 03DF9FEF
	v_rcp_f32_e32 v47, v48                                     // 00000001DA5C: 7E5E4530
	s_waitcnt lgkmcnt(0)                                       // 00000001DA60: BF8CC07F
	s_barrier                                                  // 00000001DA64: BF8A0000
	ds_read_b64 v[160:161], v9 offset:37376                    // 00000001DA68: D8EC9200 A0000009
	ds_read_b64 v[162:163], v9 offset:37504                    // 00000001DA70: D8EC9280 A2000009
	ds_read_b64 v[164:165], v9 offset:38400                    // 00000001DA78: D8EC9600 A4000009
	ds_read_b64 v[166:167], v9 offset:38528                    // 00000001DA80: D8EC9680 A6000009
	ds_read_b64 v[168:169], v9 offset:39424                    // 00000001DA88: D8EC9A00 A8000009
	ds_read_b64 v[170:171], v9 offset:39552                    // 00000001DA90: D8EC9A80 AA000009
	ds_read_b64 v[172:173], v9 offset:40448                    // 00000001DA98: D8EC9E00 AC000009
	ds_read_b64 v[174:175], v9 offset:40576                    // 00000001DAA0: D8EC9E80 AE000009
	s_waitcnt vmcnt(15)                                        // 00000001DAA8: BF8C0F7F
	v_mfma_f32_16x16x32_fp8_fp8 v[176:179], a[96:97], v[112:113], 0// 00000001DAAC: D3F300B0 0A02E160
	v_mfma_f32_16x16x32_fp8_fp8 v[176:179], a[98:99], v[114:115], v[176:179]// 00000001DAB4: D3F300B0 0EC2E562
	buffer_load_dwordx4 a[80:83], v30, s[20:23], 0 offen offset:1024// 00000001DABC: E05C1400 8085501E
	v_mfma_f32_16x16x32_fp8_fp8 v[176:179], a[100:101], v[116:117], v[176:179]// 00000001DAC4: D3F300B0 0EC2E964
	v_mfma_f32_16x16x32_fp8_fp8 v[176:179], a[102:103], v[118:119], v[176:179]// 00000001DACC: D3F300B0 0EC2ED66
	v_mfma_f32_16x16x32_fp8_fp8 v[176:179], a[104:105], v[120:121], v[176:179]// 00000001DAD4: D3F300B0 0EC2F168
	v_mfma_f32_16x16x32_fp8_fp8 v[176:179], a[106:107], v[122:123], v[176:179]// 00000001DADC: D3F300B0 0EC2F56A
	buffer_load_dwordx4 a[84:87], v31, s[20:23], 0 offen offset:1024// 00000001DAE4: E05C1400 8085541F
	v_mfma_f32_16x16x32_fp8_fp8 v[176:179], a[108:109], v[124:125], v[176:179]// 00000001DAEC: D3F300B0 0EC2F96C
	v_mfma_f32_16x16x32_fp8_fp8 v[176:179], a[110:111], v[126:127], v[176:179]// 00000001DAF4: D3F300B0 0EC2FD6E
	v_mfma_f32_16x16x32_fp8_fp8 v[180:183], a[112:113], v[112:113], 0// 00000001DAFC: D3F300B4 0A02E170
	v_mfma_f32_16x16x32_fp8_fp8 v[180:183], a[114:115], v[114:115], v[180:183]// 00000001DB04: D3F300B4 0ED2E572
	buffer_load_dwordx4 a[88:91], v32, s[20:23], 0 offen offset:1024// 00000001DB0C: E05C1400 80855820
	v_mfma_f32_16x16x32_fp8_fp8 v[180:183], a[116:117], v[116:117], v[180:183]// 00000001DB14: D3F300B4 0ED2E974
	v_mfma_f32_16x16x32_fp8_fp8 v[180:183], a[118:119], v[118:119], v[180:183]// 00000001DB1C: D3F300B4 0ED2ED76
	v_mfma_f32_16x16x32_fp8_fp8 v[180:183], a[120:121], v[120:121], v[180:183]// 00000001DB24: D3F300B4 0ED2F178
	v_mfma_f32_16x16x32_fp8_fp8 v[180:183], a[122:123], v[122:123], v[180:183]// 00000001DB2C: D3F300B4 0ED2F57A
	buffer_load_dwordx4 a[92:95], v33, s[20:23], 0 offen offset:1024// 00000001DB34: E05C1400 80855C21
	v_mfma_f32_16x16x32_fp8_fp8 v[180:183], a[124:125], v[124:125], v[180:183]// 00000001DB3C: D3F300B4 0ED2F97C
	s_lshr_b32 s57, s70, 4                                     // 00000001DB44: 8F398446
	s_add_u32 s57, 48, s57                                     // 00000001DB48: 803939B0
	v_mfma_f32_16x16x32_fp8_fp8 v[180:183], a[126:127], v[126:127], v[180:183]// 00000001DB4C: D3F300B4 0ED2FD7E
	s_cmp_ge_u32 s57, s73                                      // 00000001DB54: BF094939
	s_cselect_b32 s56, 0, s56                                  // 00000001DB58: 85383880
	v_mfma_f32_16x16x32_fp8_fp8 v[184:187], a[96:97], v[128:129], 0// 00000001DB5C: D3F300B8 0A030160
	v_mfma_f32_16x16x32_fp8_fp8 v[184:187], a[98:99], v[130:131], v[184:187]// 00000001DB64: D3F300B8 0EE30562
	v_mfma_f32_16x16x32_fp8_fp8 v[184:187], a[100:101], v[132:133], v[184:187]// 00000001DB6C: D3F300B8 0EE30964
	v_mfma_f32_16x16x32_fp8_fp8 v[184:187], a[102:103], v[134:135], v[184:187]// 00000001DB74: D3F300B8 0EE30D66
	v_mfma_f32_16x16x32_fp8_fp8 v[184:187], a[104:105], v[136:137], v[184:187]// 00000001DB7C: D3F300B8 0EE31168
	v_mfma_f32_16x16x32_fp8_fp8 v[184:187], a[106:107], v[138:139], v[184:187]// 00000001DB84: D3F300B8 0EE3156A
	v_mfma_f32_16x16x32_fp8_fp8 v[184:187], a[108:109], v[140:141], v[184:187]// 00000001DB8C: D3F300B8 0EE3196C
	v_mfma_f32_16x16x32_fp8_fp8 v[184:187], a[110:111], v[142:143], v[184:187]// 00000001DB94: D3F300B8 0EE31D6E
	v_mfma_f32_16x16x32_fp8_fp8 v[188:191], a[112:113], v[128:129], 0// 00000001DB9C: D3F300BC 0A030170
	v_mfma_f32_16x16x32_fp8_fp8 v[188:191], a[114:115], v[130:131], v[188:191]// 00000001DBA4: D3F300BC 0EF30572
	v_mfma_f32_16x16x32_fp8_fp8 v[188:191], a[116:117], v[132:133], v[188:191]// 00000001DBAC: D3F300BC 0EF30974
	v_mfma_f32_16x16x32_fp8_fp8 v[188:191], a[118:119], v[134:135], v[188:191]// 00000001DBB4: D3F300BC 0EF30D76
	v_mfma_f32_16x16x32_fp8_fp8 v[188:191], a[120:121], v[136:137], v[188:191]// 00000001DBBC: D3F300BC 0EF31178
	v_mfma_f32_16x16x32_fp8_fp8 v[188:191], a[122:123], v[138:139], v[188:191]// 00000001DBC4: D3F300BC 0EF3157A
	v_mfma_f32_16x16x32_fp8_fp8 v[188:191], a[124:125], v[140:141], v[188:191]// 00000001DBCC: D3F300BC 0EF3197C
	v_mfma_f32_16x16x32_fp8_fp8 v[188:191], a[126:127], v[142:143], v[188:191]// 00000001DBD4: D3F300BC 0EF31D7E
	v_mfma_f32_16x16x32_fp8_fp8 v[192:195], a[96:97], v[144:145], 0// 00000001DBDC: D3F300C0 0A032160
	v_mfma_f32_16x16x32_fp8_fp8 v[192:195], a[98:99], v[146:147], v[192:195]// 00000001DBE4: D3F300C0 0F032562
	v_mfma_f32_16x16x32_fp8_fp8 v[192:195], a[100:101], v[148:149], v[192:195]// 00000001DBEC: D3F300C0 0F032964
	v_mfma_f32_16x16x32_fp8_fp8 v[192:195], a[102:103], v[150:151], v[192:195]// 00000001DBF4: D3F300C0 0F032D66
	v_mfma_f32_16x16x32_fp8_fp8 v[192:195], a[104:105], v[152:153], v[192:195]// 00000001DBFC: D3F300C0 0F033168
	v_mfma_f32_16x16x32_fp8_fp8 v[192:195], a[106:107], v[154:155], v[192:195]// 00000001DC04: D3F300C0 0F03356A
	v_mfma_f32_16x16x32_fp8_fp8 v[192:195], a[108:109], v[156:157], v[192:195]// 00000001DC0C: D3F300C0 0F03396C
	v_mfma_f32_16x16x32_fp8_fp8 v[192:195], a[110:111], v[158:159], v[192:195]// 00000001DC14: D3F300C0 0F033D6E
	v_mfma_f32_16x16x32_fp8_fp8 v[196:199], a[112:113], v[144:145], 0// 00000001DC1C: D3F300C4 0A032170
	v_mfma_f32_16x16x32_fp8_fp8 v[196:199], a[114:115], v[146:147], v[196:199]// 00000001DC24: D3F300C4 0F132572
	v_mfma_f32_16x16x32_fp8_fp8 v[196:199], a[116:117], v[148:149], v[196:199]// 00000001DC2C: D3F300C4 0F132974
	v_mfma_f32_16x16x32_fp8_fp8 v[196:199], a[118:119], v[150:151], v[196:199]// 00000001DC34: D3F300C4 0F132D76
	v_mfma_f32_16x16x32_fp8_fp8 v[196:199], a[120:121], v[152:153], v[196:199]// 00000001DC3C: D3F300C4 0F133178
	v_mfma_f32_16x16x32_fp8_fp8 v[196:199], a[122:123], v[154:155], v[196:199]// 00000001DC44: D3F300C4 0F13357A
	v_mfma_f32_16x16x32_fp8_fp8 v[196:199], a[124:125], v[156:157], v[196:199]// 00000001DC4C: D3F300C4 0F13397C
	v_mfma_f32_16x16x32_fp8_fp8 v[196:199], a[126:127], v[158:159], v[196:199]// 00000001DC54: D3F300C4 0F133D7E
	v_mfma_f32_16x16x32_fp8_fp8 v[200:203], a[96:97], v[160:161], 0// 00000001DC5C: D3F300C8 0A034160
	v_mfma_f32_16x16x32_fp8_fp8 v[200:203], a[98:99], v[162:163], v[200:203]// 00000001DC64: D3F300C8 0F234562
	v_mfma_f32_16x16x32_fp8_fp8 v[200:203], a[100:101], v[164:165], v[200:203]// 00000001DC6C: D3F300C8 0F234964
	v_mfma_f32_16x16x32_fp8_fp8 v[200:203], a[102:103], v[166:167], v[200:203]// 00000001DC74: D3F300C8 0F234D66
	v_mfma_f32_16x16x32_fp8_fp8 v[200:203], a[104:105], v[168:169], v[200:203]// 00000001DC7C: D3F300C8 0F235168
	v_mfma_f32_16x16x32_fp8_fp8 v[200:203], a[106:107], v[170:171], v[200:203]// 00000001DC84: D3F300C8 0F23556A
	v_mfma_f32_16x16x32_fp8_fp8 v[200:203], a[108:109], v[172:173], v[200:203]// 00000001DC8C: D3F300C8 0F23596C
	v_mfma_f32_16x16x32_fp8_fp8 v[200:203], a[110:111], v[174:175], v[200:203]// 00000001DC94: D3F300C8 0F235D6E
	v_mfma_f32_16x16x32_fp8_fp8 v[204:207], a[112:113], v[160:161], 0// 00000001DC9C: D3F300CC 0A034170
	v_mfma_f32_16x16x32_fp8_fp8 v[204:207], a[114:115], v[162:163], v[204:207]// 00000001DCA4: D3F300CC 0F334572
	v_mfma_f32_16x16x32_fp8_fp8 v[204:207], a[116:117], v[164:165], v[204:207]// 00000001DCAC: D3F300CC 0F334974
	v_mfma_f32_16x16x32_fp8_fp8 v[204:207], a[118:119], v[166:167], v[204:207]// 00000001DCB4: D3F300CC 0F334D76
	v_mfma_f32_16x16x32_fp8_fp8 v[204:207], a[120:121], v[168:169], v[204:207]// 00000001DCBC: D3F300CC 0F335178
	v_mfma_f32_16x16x32_fp8_fp8 v[204:207], a[122:123], v[170:171], v[204:207]// 00000001DCC4: D3F300CC 0F33557A
	v_mfma_f32_16x16x32_fp8_fp8 v[204:207], a[124:125], v[172:173], v[204:207]// 00000001DCCC: D3F300CC 0F33597C
	v_mfma_f32_16x16x32_fp8_fp8 v[204:207], a[126:127], v[174:175], v[204:207]// 00000001DCD4: D3F300CC 0F335D7E
	v_add_u32_e32 v1, s56, v1                                  // 00000001DCDC: 68020238
	s_addk_i32 s70, 0x100                                      // 00000001DCE0: B7460100
	s_cmp_lt_i32 s70, s71                                      // 00000001DCE4: BF044746
	s_cbranch_scc0 label_6EBC                                  // 00000001DCE8: BF840001
	s_branch label_5E5F                                        // 00000001DCEC: BF82EFA3

000000000001dcf0 <label_6EBC>:
	s_nop 0                                                    // 00000001DCF0: BF800000
	s_nop 0                                                    // 00000001DCF4: BF800000
	s_branch label_7F1C                                        // 00000001DCF8: BF82105D

000000000001dcfc <label_6EBF>:
	s_waitcnt vmcnt(8) lgkmcnt(0)                              // 00000001DCFC: BF8C0078
	v_mul_u32_u24_dpp v64, v17, v54 row_newbcast:0 row_mask:0xf bank_mask:0xf// 00000001DD00: 10806CFA FF015011
	v_mul_u32_u24_dpp v65, v17, v54 row_newbcast:4 row_mask:0xf bank_mask:0xf// 00000001DD08: 10826CFA FF015411
	v_mul_u32_u24_dpp v66, v17, v54 row_newbcast:8 row_mask:0xf bank_mask:0xf// 00000001DD10: 10846CFA FF015811
	v_mul_u32_u24_dpp v67, v17, v54 row_newbcast:12 row_mask:0xf bank_mask:0xf// 00000001DD18: 10866CFA FF015C11
	v_add_u32_e32 v26, v64, v5                                 // 00000001DD20: 68340B40
	v_add_u32_e32 v27, v65, v5                                 // 00000001DD24: 68360B41
	v_add_u32_e32 v28, v66, v5                                 // 00000001DD28: 68380B42
	v_add_u32_e32 v29, v67, v5                                 // 00000001DD2C: 683A0B43
	v_mul_u32_u24_dpp v64, v17, v63 quad_perm:[0,0,0,0] row_mask:0xf bank_mask:0xf// 00000001DD30: 10807EFA FF000011
	v_add_u32_e32 v3, v64, v59                                 // 00000001DD38: 68067740
	v_mul_u32_u24_dpp v64, v17, v63 quad_perm:[0,0,0,0] row_mask:0xf bank_mask:0xf// 00000001DD3C: 10807EFA FF000011
	v_add_u32_e32 v56, v64, v60                                // 00000001DD44: 68707940
	v_mfma_f32_16x16x32_fp8_fp8 v[112:115], a[0:1], v[80:81], 0// 00000001DD48: D3F30070 0A02A100
	buffer_load_dwordx4 a[32:35], v26, s[16:19], 0 offen       // 00000001DD50: E05C1000 8084201A
	v_mfma_f32_16x16x32_fp8_fp8 v[112:115], a[2:3], v[82:83], v[112:115]// 00000001DD58: D3F30070 0DC2A502
	v_mfma_f32_16x16x32_fp8_fp8 v[112:115], a[4:5], v[84:85], v[112:115]// 00000001DD60: D3F30070 0DC2A904
	buffer_load_dword v16, v1, s[24:27], 0 offen               // 00000001DD68: E0501000 80061001
	v_mfma_f32_16x16x32_fp8_fp8 v[112:115], a[6:7], v[86:87], v[112:115]// 00000001DD70: D3F30070 0DC2AD06
	v_mfma_f32_16x16x32_fp8_fp8 v[116:119], a[8:9], v[80:81], 0// 00000001DD78: D3F30074 0A02A108
	buffer_load_dwordx4 a[36:39], v26, s[16:19], 0 offen offset:1024// 00000001DD80: E05C1400 8084241A
	v_mfma_f32_16x16x32_fp8_fp8 v[116:119], a[10:11], v[82:83], v[116:119]// 00000001DD88: D3F30074 0DD2A50A
	v_mfma_f32_16x16x32_fp8_fp8 v[116:119], a[12:13], v[84:85], v[116:119]// 00000001DD90: D3F30074 0DD2A90C
	v_mfma_f32_16x16x32_fp8_fp8 v[116:119], a[14:15], v[86:87], v[116:119]// 00000001DD98: D3F30074 0DD2AD0E
	v_mfma_f32_16x16x32_fp8_fp8 v[120:123], a[16:17], v[80:81], 0// 00000001DDA0: D3F30078 0A02A110
	buffer_load_dwordx4 a[40:43], v27, s[16:19], 0 offen       // 00000001DDA8: E05C1000 8084281B
	v_mfma_f32_16x16x32_fp8_fp8 v[120:123], a[18:19], v[82:83], v[120:123]// 00000001DDB0: D3F30078 0DE2A512
	v_mfma_f32_16x16x32_fp8_fp8 v[120:123], a[20:21], v[84:85], v[120:123]// 00000001DDB8: D3F30078 0DE2A914
	v_mfma_f32_16x16x32_fp8_fp8 v[120:123], a[22:23], v[86:87], v[120:123]// 00000001DDC0: D3F30078 0DE2AD16
	v_mfma_f32_16x16x32_fp8_fp8 v[124:127], a[24:25], v[80:81], 0// 00000001DDC8: D3F3007C 0A02A118
	buffer_load_dwordx4 a[44:47], v27, s[16:19], 0 offen offset:1024// 00000001DDD0: E05C1400 80842C1B
	v_mfma_f32_16x16x32_fp8_fp8 v[124:127], a[26:27], v[82:83], v[124:127]// 00000001DDD8: D3F3007C 0DF2A51A
	v_mfma_f32_16x16x32_fp8_fp8 v[124:127], a[28:29], v[84:85], v[124:127]// 00000001DDE0: D3F3007C 0DF2A91C
	v_mfma_f32_16x16x32_fp8_fp8 v[124:127], a[30:31], v[86:87], v[124:127]// 00000001DDE8: D3F3007C 0DF2AD1E
	v_mfma_f32_16x16x32_fp8_fp8 v[128:131], a[0:1], v[88:89], 0// 00000001DDF0: D3F30080 0A02B100
	v_mfma_f32_16x16x32_fp8_fp8 v[128:131], a[2:3], v[90:91], v[128:131]// 00000001DDF8: D3F30080 0E02B502
	v_mfma_f32_16x16x32_fp8_fp8 v[128:131], a[4:5], v[92:93], v[128:131]// 00000001DE00: D3F30080 0E02B904
	v_mfma_f32_16x16x32_fp8_fp8 v[128:131], a[6:7], v[94:95], v[128:131]// 00000001DE08: D3F30080 0E02BD06
	v_mfma_f32_16x16x32_fp8_fp8 v[132:135], a[8:9], v[88:89], 0// 00000001DE10: D3F30084 0A02B108
	v_mfma_f32_16x16x32_fp8_fp8 v[132:135], a[10:11], v[90:91], v[132:135]// 00000001DE18: D3F30084 0E12B50A
	v_mfma_f32_16x16x32_fp8_fp8 v[132:135], a[12:13], v[92:93], v[132:135]// 00000001DE20: D3F30084 0E12B90C
	v_mfma_f32_16x16x32_fp8_fp8 v[132:135], a[14:15], v[94:95], v[132:135]// 00000001DE28: D3F30084 0E12BD0E
	v_mfma_f32_16x16x32_fp8_fp8 v[136:139], a[16:17], v[88:89], 0// 00000001DE30: D3F30088 0A02B110
	v_mfma_f32_16x16x32_fp8_fp8 v[136:139], a[18:19], v[90:91], v[136:139]// 00000001DE38: D3F30088 0E22B512
	v_mfma_f32_16x16x32_fp8_fp8 v[136:139], a[20:21], v[92:93], v[136:139]// 00000001DE40: D3F30088 0E22B914
	v_mfma_f32_16x16x32_fp8_fp8 v[136:139], a[22:23], v[94:95], v[136:139]// 00000001DE48: D3F30088 0E22BD16
	v_mfma_f32_16x16x32_fp8_fp8 v[140:143], a[24:25], v[88:89], 0// 00000001DE50: D3F3008C 0A02B118
	v_mfma_f32_16x16x32_fp8_fp8 v[140:143], a[26:27], v[90:91], v[140:143]// 00000001DE58: D3F3008C 0E32B51A
	v_mfma_f32_16x16x32_fp8_fp8 v[140:143], a[28:29], v[92:93], v[140:143]// 00000001DE60: D3F3008C 0E32B91C
	v_mfma_f32_16x16x32_fp8_fp8 v[140:143], a[30:31], v[94:95], v[140:143]// 00000001DE68: D3F3008C 0E32BD1E
	v_mfma_f32_16x16x32_fp8_fp8 v[144:147], a[0:1], v[96:97], 0// 00000001DE70: D3F30090 0A02C100
	v_mfma_f32_16x16x32_fp8_fp8 v[144:147], a[2:3], v[98:99], v[144:147]// 00000001DE78: D3F30090 0E42C502
	v_mfma_f32_16x16x32_fp8_fp8 v[144:147], a[4:5], v[100:101], v[144:147]// 00000001DE80: D3F30090 0E42C904
	v_mfma_f32_16x16x32_fp8_fp8 v[144:147], a[6:7], v[102:103], v[144:147]// 00000001DE88: D3F30090 0E42CD06
	v_mfma_f32_16x16x32_fp8_fp8 v[148:151], a[8:9], v[96:97], 0// 00000001DE90: D3F30094 0A02C108
	v_mfma_f32_16x16x32_fp8_fp8 v[148:151], a[10:11], v[98:99], v[148:151]// 00000001DE98: D3F30094 0E52C50A
	v_mfma_f32_16x16x32_fp8_fp8 v[148:151], a[12:13], v[100:101], v[148:151]// 00000001DEA0: D3F30094 0E52C90C
	v_mfma_f32_16x16x32_fp8_fp8 v[148:151], a[14:15], v[102:103], v[148:151]// 00000001DEA8: D3F30094 0E52CD0E
	v_mfma_f32_16x16x32_fp8_fp8 v[152:155], a[16:17], v[96:97], 0// 00000001DEB0: D3F30098 0A02C110
	v_mfma_f32_16x16x32_fp8_fp8 v[152:155], a[18:19], v[98:99], v[152:155]// 00000001DEB8: D3F30098 0E62C512
	v_mfma_f32_16x16x32_fp8_fp8 v[152:155], a[20:21], v[100:101], v[152:155]// 00000001DEC0: D3F30098 0E62C914
	v_mfma_f32_16x16x32_fp8_fp8 v[152:155], a[22:23], v[102:103], v[152:155]// 00000001DEC8: D3F30098 0E62CD16
	v_mfma_f32_16x16x32_fp8_fp8 v[156:159], a[24:25], v[96:97], 0// 00000001DED0: D3F3009C 0A02C118
	v_mfma_f32_16x16x32_fp8_fp8 v[156:159], a[26:27], v[98:99], v[156:159]// 00000001DED8: D3F3009C 0E72C51A
	v_mfma_f32_16x16x32_fp8_fp8 v[156:159], a[28:29], v[100:101], v[156:159]// 00000001DEE0: D3F3009C 0E72C91C
	v_mfma_f32_16x16x32_fp8_fp8 v[156:159], a[30:31], v[102:103], v[156:159]// 00000001DEE8: D3F3009C 0E72CD1E
	v_mfma_f32_16x16x32_fp8_fp8 v[160:163], a[0:1], v[104:105], 0// 00000001DEF0: D3F300A0 0A02D100
	v_mfma_f32_16x16x32_fp8_fp8 v[160:163], a[2:3], v[106:107], v[160:163]// 00000001DEF8: D3F300A0 0E82D502
	v_mfma_f32_16x16x32_fp8_fp8 v[160:163], a[4:5], v[108:109], v[160:163]// 00000001DF00: D3F300A0 0E82D904
	v_mfma_f32_16x16x32_fp8_fp8 v[160:163], a[6:7], v[110:111], v[160:163]// 00000001DF08: D3F300A0 0E82DD06
	v_mfma_f32_16x16x32_fp8_fp8 v[164:167], a[8:9], v[104:105], 0// 00000001DF10: D3F300A4 0A02D108
	v_mfma_f32_16x16x32_fp8_fp8 v[164:167], a[10:11], v[106:107], v[164:167]// 00000001DF18: D3F300A4 0E92D50A
	v_mfma_f32_16x16x32_fp8_fp8 v[164:167], a[12:13], v[108:109], v[164:167]// 00000001DF20: D3F300A4 0E92D90C
	v_mfma_f32_16x16x32_fp8_fp8 v[164:167], a[14:15], v[110:111], v[164:167]// 00000001DF28: D3F300A4 0E92DD0E
	v_mfma_f32_16x16x32_fp8_fp8 v[168:171], a[16:17], v[104:105], 0// 00000001DF30: D3F300A8 0A02D110
	v_mfma_f32_16x16x32_fp8_fp8 v[168:171], a[18:19], v[106:107], v[168:171]// 00000001DF38: D3F300A8 0EA2D512
	v_mfma_f32_16x16x32_fp8_fp8 v[168:171], a[20:21], v[108:109], v[168:171]// 00000001DF40: D3F300A8 0EA2D914
	v_mfma_f32_16x16x32_fp8_fp8 v[168:171], a[22:23], v[110:111], v[168:171]// 00000001DF48: D3F300A8 0EA2DD16
	v_mfma_f32_16x16x32_fp8_fp8 v[172:175], a[24:25], v[104:105], 0// 00000001DF50: D3F300AC 0A02D118
	v_mfma_f32_16x16x32_fp8_fp8 v[172:175], a[26:27], v[106:107], v[172:175]// 00000001DF58: D3F300AC 0EB2D51A
	v_mfma_f32_16x16x32_fp8_fp8 v[172:175], a[28:29], v[108:109], v[172:175]// 00000001DF60: D3F300AC 0EB2D91C
	v_mfma_f32_16x16x32_fp8_fp8 v[172:175], a[30:31], v[110:111], v[172:175]// 00000001DF68: D3F300AC 0EB2DD1E
	buffer_load_dword v43, v3, s[32:35], 0 offen               // 00000001DF70: E0501000 80082B03
	v_mov_b32_dpp v64, v42 row_shr:4 row_mask:0xf bank_mask:0xf// 00000001DF78: 7E8002FA FF01142A
	v_mov_b32_dpp v65, v42 row_shl:4 row_mask:0xf bank_mask:0xf// 00000001DF80: 7E8202FA FF01042A
	v_cndmask_b32_e64 v248, v42, v64, s[44:45]                 // 00000001DF88: D10000F8 00B2812A
	v_cndmask_b32_e64 v249, v65, v42, s[44:45]                 // 00000001DF90: D10000F9 00B25541
	v_mov_b32_dpp v64, v248 row_shr:8 row_mask:0xf bank_mask:0xf// 00000001DF98: 7E8002FA FF0118F8
	v_mov_b32_dpp v65, v248 row_shl:8 row_mask:0xf bank_mask:0xf// 00000001DFA0: 7E8202FA FF0108F8
	v_mov_b32_dpp v66, v249 row_shr:8 row_mask:0xf bank_mask:0xf// 00000001DFA8: 7E8402FA FF0118F9
	v_mov_b32_dpp v67, v249 row_shl:8 row_mask:0xf bank_mask:0xf// 00000001DFB0: 7E8602FA FF0108F9
	v_mov_b32_e32 v68, v248                                    // 00000001DFB8: 7E8803F8
	v_mov_b32_e32 v69, v249                                    // 00000001DFBC: 7E8A03F9
	v_cndmask_b32_e64 v248, v68, v64, s[42:43]                 // 00000001DFC0: D10000F8 00AA8144
	v_cndmask_b32_e64 v250, v68, v65, s[78:79]                 // 00000001DFC8: D10000FA 013A8344
	v_cndmask_b32_e64 v249, v69, v66, s[42:43]                 // 00000001DFD0: D10000F9 00AA8545
	v_cndmask_b32_e64 v251, v69, v67, s[78:79]                 // 00000001DFD8: D10000FB 013A8745
	v_mov_b32_dpp v64, v57 row_shr:4 row_mask:0xf bank_mask:0xf// 00000001DFE0: 7E8002FA FF011439
	v_mov_b32_dpp v65, v57 row_shl:4 row_mask:0xf bank_mask:0xf// 00000001DFE8: 7E8202FA FF010439
	v_cndmask_b32_e64 v252, v57, v64, s[44:45]                 // 00000001DFF0: D10000FC 00B28139
	v_cndmask_b32_e64 v253, v65, v57, s[44:45]                 // 00000001DFF8: D10000FD 00B27341
	v_mov_b32_dpp v64, v252 row_shr:8 row_mask:0xf bank_mask:0xf// 00000001E000: 7E8002FA FF0118FC
	v_mov_b32_dpp v65, v252 row_shl:8 row_mask:0xf bank_mask:0xf// 00000001E008: 7E8202FA FF0108FC
	v_mov_b32_dpp v66, v253 row_shr:8 row_mask:0xf bank_mask:0xf// 00000001E010: 7E8402FA FF0118FD
	v_mov_b32_dpp v67, v253 row_shl:8 row_mask:0xf bank_mask:0xf// 00000001E018: 7E8602FA FF0108FD
	v_mov_b32_e32 v68, v252                                    // 00000001E020: 7E8803FC
	v_mov_b32_e32 v69, v253                                    // 00000001E024: 7E8A03FD
	v_cndmask_b32_e64 v252, v68, v64, s[42:43]                 // 00000001E028: D10000FC 00AA8144
	v_cndmask_b32_e64 v254, v68, v65, s[78:79]                 // 00000001E030: D10000FE 013A8344
	v_cndmask_b32_e64 v253, v69, v66, s[42:43]                 // 00000001E038: D10000FD 00AA8545
	v_cndmask_b32_e64 v255, v69, v67, s[78:79]                 // 00000001E040: D10000FF 013A8745
	buffer_load_dword v58, v56, s[36:39], 0 offen              // 00000001E048: E0501000 80093A38
	v_mul_f32_e32 v112, v18, v112                              // 00000001E050: 0AE0E112
	v_mul_f32_e32 v113, v18, v113                              // 00000001E054: 0AE2E312
	v_mul_f32_e32 v114, v18, v114                              // 00000001E058: 0AE4E512
	v_mul_f32_e32 v115, v18, v115                              // 00000001E05C: 0AE6E712
	v_mul_f32_e32 v116, v18, v116                              // 00000001E060: 0AE8E912
	v_mul_f32_e32 v117, v18, v117                              // 00000001E064: 0AEAEB12
	v_mul_f32_e32 v118, v18, v118                              // 00000001E068: 0AECED12
	v_mul_f32_e32 v119, v18, v119                              // 00000001E06C: 0AEEEF12
	v_mul_f32_e32 v120, v18, v120                              // 00000001E070: 0AF0F112
	v_mul_f32_e32 v121, v18, v121                              // 00000001E074: 0AF2F312
	v_mul_f32_e32 v122, v18, v122                              // 00000001E078: 0AF4F512
	v_mul_f32_e32 v123, v18, v123                              // 00000001E07C: 0AF6F712
	v_mul_f32_e32 v124, v18, v124                              // 00000001E080: 0AF8F912
	v_mul_f32_e32 v125, v18, v125                              // 00000001E084: 0AFAFB12
	v_mul_f32_e32 v126, v18, v126                              // 00000001E088: 0AFCFD12
	v_mul_f32_e32 v127, v18, v127                              // 00000001E08C: 0AFEFF12
	buffer_load_dwordx4 a[48:51], v28, s[16:19], 0 offen       // 00000001E090: E05C1000 8084301C
	v_mul_f32_dpp v112, v248, v112 quad_perm:[0,0,0,0] row_mask:0xf bank_mask:0xf// 00000001E098: 0AE0E0FA FF0000F8
	v_mul_f32_dpp v113, v248, v113 quad_perm:[1,1,1,1] row_mask:0xf bank_mask:0xf// 00000001E0A0: 0AE2E2FA FF0055F8
	v_mul_f32_dpp v114, v248, v114 quad_perm:[2,2,2,2] row_mask:0xf bank_mask:0xf// 00000001E0A8: 0AE4E4FA FF00AAF8
	v_mul_f32_dpp v115, v248, v115 quad_perm:[3,3,3,3] row_mask:0xf bank_mask:0xf// 00000001E0B0: 0AE6E6FA FF00FFF8
	v_mul_f32_dpp v116, v249, v116 quad_perm:[0,0,0,0] row_mask:0xf bank_mask:0xf// 00000001E0B8: 0AE8E8FA FF0000F9
	v_mul_f32_dpp v117, v249, v117 quad_perm:[1,1,1,1] row_mask:0xf bank_mask:0xf// 00000001E0C0: 0AEAEAFA FF0055F9
	v_mul_f32_dpp v118, v249, v118 quad_perm:[2,2,2,2] row_mask:0xf bank_mask:0xf// 00000001E0C8: 0AECECFA FF00AAF9
	v_mul_f32_dpp v119, v249, v119 quad_perm:[3,3,3,3] row_mask:0xf bank_mask:0xf// 00000001E0D0: 0AEEEEFA FF00FFF9
	v_mul_f32_dpp v120, v250, v120 quad_perm:[0,0,0,0] row_mask:0xf bank_mask:0xf// 00000001E0D8: 0AF0F0FA FF0000FA
	v_mul_f32_dpp v121, v250, v121 quad_perm:[1,1,1,1] row_mask:0xf bank_mask:0xf// 00000001E0E0: 0AF2F2FA FF0055FA
	v_mul_f32_dpp v122, v250, v122 quad_perm:[2,2,2,2] row_mask:0xf bank_mask:0xf// 00000001E0E8: 0AF4F4FA FF00AAFA
	v_mul_f32_dpp v123, v250, v123 quad_perm:[3,3,3,3] row_mask:0xf bank_mask:0xf// 00000001E0F0: 0AF6F6FA FF00FFFA
	v_mul_f32_dpp v124, v251, v124 quad_perm:[0,0,0,0] row_mask:0xf bank_mask:0xf// 00000001E0F8: 0AF8F8FA FF0000FB
	v_mul_f32_dpp v125, v251, v125 quad_perm:[1,1,1,1] row_mask:0xf bank_mask:0xf// 00000001E100: 0AFAFAFA FF0055FB
	v_mul_f32_dpp v126, v251, v126 quad_perm:[2,2,2,2] row_mask:0xf bank_mask:0xf// 00000001E108: 0AFCFCFA FF00AAFB
	v_mul_f32_dpp v127, v251, v127 quad_perm:[3,3,3,3] row_mask:0xf bank_mask:0xf// 00000001E110: 0AFEFEFA FF00FFFB
	buffer_load_dwordx4 a[52:55], v28, s[16:19], 0 offen offset:1024// 00000001E118: E05C1400 8084341C
	v_mov_b32_e32 v48, v112                                    // 00000001E120: 7E600370
	v_max3_f32 v48, v112, v113, v48                            // 00000001E124: D1D30030 04C2E370
	v_max3_f32 v48, v114, v115, v48                            // 00000001E12C: D1D30030 04C2E772
	v_max3_f32 v48, v116, v117, v48                            // 00000001E134: D1D30030 04C2EB74
	v_max3_f32 v48, v118, v119, v48                            // 00000001E13C: D1D30030 04C2EF76
	v_max3_f32 v48, v120, v121, v48                            // 00000001E144: D1D30030 04C2F378
	v_max3_f32 v48, v122, v123, v48                            // 00000001E14C: D1D30030 04C2F77A
	v_max3_f32 v48, v124, v125, v48                            // 00000001E154: D1D30030 04C2FB7C
	v_max3_f32 v48, v126, v127, v48                            // 00000001E15C: D1D30030 04C2FF7E
	ds_write_b32 v8, v48 offset:16896                          // 00000001E164: D81A4200 00003008
	buffer_load_dwordx4 a[56:59], v29, s[16:19], 0 offen       // 00000001E16C: E05C1000 8084381D
	v_mul_u32_u24_dpp v64, v17, v54 row_newbcast:1 row_mask:0xf bank_mask:0xf// 00000001E174: 10806CFA FF015111
	v_mul_u32_u24_dpp v65, v17, v54 row_newbcast:5 row_mask:0xf bank_mask:0xf// 00000001E17C: 10826CFA FF015511
	v_mul_u32_u24_dpp v66, v17, v54 row_newbcast:9 row_mask:0xf bank_mask:0xf// 00000001E184: 10846CFA FF015911
	v_mul_u32_u24_dpp v67, v17, v54 row_newbcast:13 row_mask:0xf bank_mask:0xf// 00000001E18C: 10866CFA FF015D11
	v_add_u32_e32 v34, v64, v6                                 // 00000001E194: 68440D40
	v_add_u32_e32 v35, v65, v6                                 // 00000001E198: 68460D41
	v_add_u32_e32 v36, v66, v6                                 // 00000001E19C: 68480D42
	v_add_u32_e32 v37, v67, v6                                 // 00000001E1A0: 684A0D43
	v_mul_f32_e32 v208, v49, v208                              // 00000001E1A4: 0BA1A131
	v_mul_f32_e32 v209, v49, v209                              // 00000001E1A8: 0BA3A331
	v_mul_f32_e32 v210, v49, v210                              // 00000001E1AC: 0BA5A531
	v_mul_f32_e32 v211, v49, v211                              // 00000001E1B0: 0BA7A731
	v_mul_f32_e32 v212, v49, v212                              // 00000001E1B4: 0BA9A931
	v_mul_f32_e32 v213, v49, v213                              // 00000001E1B8: 0BABAB31
	v_mul_f32_e32 v214, v49, v214                              // 00000001E1BC: 0BADAD31
	v_mul_f32_e32 v215, v49, v215                              // 00000001E1C0: 0BAFAF31
	s_waitcnt lgkmcnt(0)                                       // 00000001E1C4: BF8CC07F
	s_barrier                                                  // 00000001E1C8: BF8A0000
	ds_read_b32 v64, v7 offset:16896                           // 00000001E1CC: D86C4200 40000007
	ds_read_b32 v65, v7 offset:16960                           // 00000001E1D4: D86C4240 41000007
	ds_read_b32 v66, v7 offset:17024                           // 00000001E1DC: D86C4280 42000007
	ds_read_b32 v67, v7 offset:17088                           // 00000001E1E4: D86C42C0 43000007
	ds_read_b32 v68, v7 offset:17152                           // 00000001E1EC: D86C4300 44000007
	ds_read_b32 v69, v7 offset:17216                           // 00000001E1F4: D86C4340 45000007
	ds_read_b32 v70, v7 offset:17280                           // 00000001E1FC: D86C4380 46000007
	ds_read_b32 v71, v7 offset:17344                           // 00000001E204: D86C43C0 47000007
	ds_read_b32 v72, v7 offset:17408                           // 00000001E20C: D86C4400 48000007
	ds_read_b32 v73, v7 offset:17472                           // 00000001E214: D86C4440 49000007
	ds_read_b32 v74, v7 offset:17536                           // 00000001E21C: D86C4480 4A000007
	ds_read_b32 v75, v7 offset:17600                           // 00000001E224: D86C44C0 4B000007
	ds_read_b32 v76, v7 offset:17664                           // 00000001E22C: D86C4500 4C000007
	ds_read_b32 v77, v7 offset:17728                           // 00000001E234: D86C4540 4D000007
	ds_read_b32 v78, v7 offset:17792                           // 00000001E23C: D86C4580 4E000007
	ds_read_b32 v79, v7 offset:17856                           // 00000001E244: D86C45C0 4F000007
	buffer_load_dwordx4 a[60:63], v29, s[16:19], 0 offen offset:1024// 00000001E24C: E05C1400 80843C1D
	v_mul_f32_e32 v176, v44, v176                              // 00000001E254: 0B61612C
	v_mul_f32_e32 v177, v44, v177                              // 00000001E258: 0B63632C
	v_mul_f32_e32 v178, v44, v178                              // 00000001E25C: 0B65652C
	v_mul_f32_e32 v179, v44, v179                              // 00000001E260: 0B67672C
	v_mul_f32_e32 v180, v44, v180                              // 00000001E264: 0B69692C
	v_mul_f32_e32 v181, v44, v181                              // 00000001E268: 0B6B6B2C
	v_mul_f32_e32 v182, v44, v182                              // 00000001E26C: 0B6D6D2C
	v_mul_f32_e32 v183, v44, v183                              // 00000001E270: 0B6F6F2C
	s_waitcnt lgkmcnt(0)                                       // 00000001E274: BF8CC07F
	v_max3_f32 v48, v64, v65, v48                              // 00000001E278: D1D30030 04C28340
	v_max3_f32 v48, v66, v67, v48                              // 00000001E280: D1D30030 04C28742
	v_max3_f32 v48, v68, v69, v48                              // 00000001E288: D1D30030 04C28B44
	v_max3_f32 v48, v70, v71, v48                              // 00000001E290: D1D30030 04C28F46
	v_max3_f32 v48, v72, v73, v48                              // 00000001E298: D1D30030 04C29348
	v_max3_f32 v48, v74, v75, v48                              // 00000001E2A0: D1D30030 04C2974A
	v_max3_f32 v48, v76, v77, v48                              // 00000001E2A8: D1D30030 04C29B4C
	v_max3_f32 v48, v78, v79, v48                              // 00000001E2B0: D1D30030 04C29F4E
	buffer_load_dwordx4 a[96:99], v34, s[20:23], 0 offen       // 00000001E2B8: E05C1000 80856022
	v_mov_b32_e32 v64, 0xff800000                              // 00000001E2C0: 7E8002FF FF800000
	v_cmp_eq_u32_e64 s[40:41], v64, v11                        // 00000001E2C8: D0CA0028 00021740
	s_nop 1                                                    // 00000001E2D0: BF800001
	v_max_f32_e32 v15, v48, v11                                // 00000001E2D4: 161E1730
	v_mul_f32_e32 v53, s64, v15                                // 00000001E2D8: 0A6A1E40
	v_fma_f32 v112, v112, s64, -v53                            // 00000001E2DC: D1CB0070 84D48170
	v_fma_f32 v113, v113, s64, -v53                            // 00000001E2E4: D1CB0071 84D48171
	v_fma_f32 v114, v114, s64, -v53                            // 00000001E2EC: D1CB0072 84D48172
	v_fma_f32 v115, v115, s64, -v53                            // 00000001E2F4: D1CB0073 84D48173
	v_fma_f32 v116, v116, s64, -v53                            // 00000001E2FC: D1CB0074 84D48174
	v_fma_f32 v117, v117, s64, -v53                            // 00000001E304: D1CB0075 84D48175
	v_fma_f32 v118, v118, s64, -v53                            // 00000001E30C: D1CB0076 84D48176
	v_fma_f32 v119, v119, s64, -v53                            // 00000001E314: D1CB0077 84D48177
	v_fma_f32 v120, v120, s64, -v53                            // 00000001E31C: D1CB0078 84D48178
	v_fma_f32 v121, v121, s64, -v53                            // 00000001E324: D1CB0079 84D48179
	v_fma_f32 v122, v122, s64, -v53                            // 00000001E32C: D1CB007A 84D4817A
	v_fma_f32 v123, v123, s64, -v53                            // 00000001E334: D1CB007B 84D4817B
	v_fma_f32 v124, v124, s64, -v53                            // 00000001E33C: D1CB007C 84D4817C
	v_fma_f32 v125, v125, s64, -v53                            // 00000001E344: D1CB007D 84D4817D
	v_fma_f32 v126, v126, s64, -v53                            // 00000001E34C: D1CB007E 84D4817E
	v_fma_f32 v127, v127, s64, -v53                            // 00000001E354: D1CB007F 84D4817F
	buffer_load_dwordx4 a[100:103], v35, s[20:23], 0 offen     // 00000001E35C: E05C1000 80856423
	v_exp_f32_e32 v112, v112                                   // 00000001E364: 7EE04170
	v_exp_f32_e32 v113, v113                                   // 00000001E368: 7EE24171
	v_exp_f32_e32 v114, v114                                   // 00000001E36C: 7EE44172
	v_exp_f32_e32 v115, v115                                   // 00000001E370: 7EE64173
	v_exp_f32_e32 v116, v116                                   // 00000001E374: 7EE84174
	v_exp_f32_e32 v117, v117                                   // 00000001E378: 7EEA4175
	v_exp_f32_e32 v118, v118                                   // 00000001E37C: 7EEC4176
	v_exp_f32_e32 v119, v119                                   // 00000001E380: 7EEE4177
	v_exp_f32_e32 v120, v120                                   // 00000001E384: 7EF04178
	v_exp_f32_e32 v121, v121                                   // 00000001E388: 7EF24179
	v_exp_f32_e32 v122, v122                                   // 00000001E38C: 7EF4417A
	v_exp_f32_e32 v123, v123                                   // 00000001E390: 7EF6417B
	v_exp_f32_e32 v124, v124                                   // 00000001E394: 7EF8417C
	v_exp_f32_e32 v125, v125                                   // 00000001E398: 7EFA417D
	v_exp_f32_e32 v126, v126                                   // 00000001E39C: 7EFC417E
	v_exp_f32_e32 v127, v127                                   // 00000001E3A0: 7EFE417F
	buffer_load_dwordx4 a[104:107], v36, s[20:23], 0 offen     // 00000001E3A4: E05C1000 80856824
	v_mul_f32_dpp v240, v252, v112 quad_perm:[0,0,0,0] row_mask:0xf bank_mask:0xf// 00000001E3AC: 0BE0E0FA FF0000FC
	v_mul_f32_dpp v241, v252, v113 quad_perm:[1,1,1,1] row_mask:0xf bank_mask:0xf// 00000001E3B4: 0BE2E2FA FF0055FC
	v_mul_f32_dpp v242, v252, v114 quad_perm:[2,2,2,2] row_mask:0xf bank_mask:0xf// 00000001E3BC: 0BE4E4FA FF00AAFC
	v_mul_f32_dpp v243, v252, v115 quad_perm:[3,3,3,3] row_mask:0xf bank_mask:0xf// 00000001E3C4: 0BE6E6FA FF00FFFC
	v_mul_f32_dpp v244, v253, v116 quad_perm:[0,0,0,0] row_mask:0xf bank_mask:0xf// 00000001E3CC: 0BE8E8FA FF0000FD
	v_mul_f32_dpp v245, v253, v117 quad_perm:[1,1,1,1] row_mask:0xf bank_mask:0xf// 00000001E3D4: 0BEAEAFA FF0055FD
	v_mul_f32_dpp v246, v253, v118 quad_perm:[2,2,2,2] row_mask:0xf bank_mask:0xf// 00000001E3DC: 0BECECFA FF00AAFD
	v_mul_f32_dpp v247, v253, v119 quad_perm:[3,3,3,3] row_mask:0xf bank_mask:0xf// 00000001E3E4: 0BEEEEFA FF00FFFD
	v_mul_f32_dpp v248, v254, v120 quad_perm:[0,0,0,0] row_mask:0xf bank_mask:0xf// 00000001E3EC: 0BF0F0FA FF0000FE
	v_mul_f32_dpp v249, v254, v121 quad_perm:[1,1,1,1] row_mask:0xf bank_mask:0xf// 00000001E3F4: 0BF2F2FA FF0055FE
	v_mul_f32_dpp v250, v254, v122 quad_perm:[2,2,2,2] row_mask:0xf bank_mask:0xf// 00000001E3FC: 0BF4F4FA FF00AAFE
	v_mul_f32_dpp v251, v254, v123 quad_perm:[3,3,3,3] row_mask:0xf bank_mask:0xf// 00000001E404: 0BF6F6FA FF00FFFE
	v_mul_f32_dpp v252, v255, v124 quad_perm:[0,0,0,0] row_mask:0xf bank_mask:0xf// 00000001E40C: 0BF8F8FA FF0000FF
	v_mul_f32_dpp v253, v255, v125 quad_perm:[1,1,1,1] row_mask:0xf bank_mask:0xf// 00000001E414: 0BFAFAFA FF0055FF
	v_mul_f32_dpp v254, v255, v126 quad_perm:[2,2,2,2] row_mask:0xf bank_mask:0xf// 00000001E41C: 0BFCFCFA FF00AAFF
	v_mul_f32_dpp v255, v255, v127 quad_perm:[3,3,3,3] row_mask:0xf bank_mask:0xf// 00000001E424: 0BFEFEFA FF00FFFF
	v_mov_b32_e32 v48, 0x358637bd                              // 00000001E42C: 7E6002FF 358637BD
	v_max3_f32 v48, |v240|, |v241|, v48                        // 00000001E434: D1D30330 04C3E3F0
	v_max3_f32 v48, |v242|, |v243|, v48                        // 00000001E43C: D1D30330 04C3E7F2
	v_max3_f32 v48, |v244|, |v245|, v48                        // 00000001E444: D1D30330 04C3EBF4
	v_max3_f32 v48, |v246|, |v247|, v48                        // 00000001E44C: D1D30330 04C3EFF6
	v_max3_f32 v48, |v248|, |v249|, v48                        // 00000001E454: D1D30330 04C3F3F8
	v_max3_f32 v48, |v250|, |v251|, v48                        // 00000001E45C: D1D30330 04C3F7FA
	v_max3_f32 v48, |v252|, |v253|, v48                        // 00000001E464: D1D30330 04C3FBFC
	v_max3_f32 v48, |v254|, |v255|, v48                        // 00000001E46C: D1D30330 04C3FFFE
	buffer_load_dwordx4 a[108:111], v37, s[20:23], 0 offen     // 00000001E474: E05C1000 80856C25
	ds_write_b32 v8, v48 offset:20992                          // 00000001E47C: D81A5200 00003008
	v_sub_f32_e32 v49, v11, v15                                // 00000001E484: 04621F0B
	v_cndmask_b32_e64 v49, v49, 0, s[40:41]                    // 00000001E488: D1000031 00A10131
	v_mov_b32_e32 v11, v15                                     // 00000001E490: 7E16030F
	v_mul_f32_e32 v49, s64, v49                                // 00000001E494: 0A626240
	v_exp_f32_e32 v49, v49                                     // 00000001E498: 7E624131
	s_waitcnt lgkmcnt(0)                                       // 00000001E49C: BF8CC07F
	s_barrier                                                  // 00000001E4A0: BF8A0000
	ds_read_b32 v64, v7 offset:20992                           // 00000001E4A4: D86C5200 40000007
	ds_read_b32 v65, v7 offset:21056                           // 00000001E4AC: D86C5240 41000007
	ds_read_b32 v66, v7 offset:21120                           // 00000001E4B4: D86C5280 42000007
	ds_read_b32 v67, v7 offset:21184                           // 00000001E4BC: D86C52C0 43000007
	ds_read_b32 v68, v7 offset:21248                           // 00000001E4C4: D86C5300 44000007
	ds_read_b32 v69, v7 offset:21312                           // 00000001E4CC: D86C5340 45000007
	ds_read_b32 v70, v7 offset:21376                           // 00000001E4D4: D86C5380 46000007
	ds_read_b32 v71, v7 offset:21440                           // 00000001E4DC: D86C53C0 47000007
	ds_read_b32 v72, v7 offset:21504                           // 00000001E4E4: D86C5400 48000007
	ds_read_b32 v73, v7 offset:21568                           // 00000001E4EC: D86C5440 49000007
	ds_read_b32 v74, v7 offset:21632                           // 00000001E4F4: D86C5480 4A000007
	ds_read_b32 v75, v7 offset:21696                           // 00000001E4FC: D86C54C0 4B000007
	ds_read_b32 v76, v7 offset:21760                           // 00000001E504: D86C5500 4C000007
	ds_read_b32 v77, v7 offset:21824                           // 00000001E50C: D86C5540 4D000007
	ds_read_b32 v78, v7 offset:21888                           // 00000001E514: D86C5580 4E000007
	ds_read_b32 v79, v7 offset:21952                           // 00000001E51C: D86C55C0 4F000007
	v_mul_f32_e32 v38, v49, v38                                // 00000001E524: 0A4C4D31
	v_mov_b32_e32 v15, v112                                    // 00000001E528: 7E1E0370
	v_add_f32_e32 v15, v113, v15                               // 00000001E52C: 021E1F71
	v_add_f32_e32 v15, v114, v15                               // 00000001E530: 021E1F72
	v_add_f32_e32 v15, v115, v15                               // 00000001E534: 021E1F73
	v_add_f32_e32 v15, v116, v15                               // 00000001E538: 021E1F74
	v_add_f32_e32 v15, v117, v15                               // 00000001E53C: 021E1F75
	v_add_f32_e32 v15, v118, v15                               // 00000001E540: 021E1F76
	v_add_f32_e32 v15, v119, v15                               // 00000001E544: 021E1F77
	v_add_f32_e32 v15, v120, v15                               // 00000001E548: 021E1F78
	v_add_f32_e32 v15, v121, v15                               // 00000001E54C: 021E1F79
	v_add_f32_e32 v15, v122, v15                               // 00000001E550: 021E1F7A
	v_add_f32_e32 v15, v123, v15                               // 00000001E554: 021E1F7B
	v_add_f32_e32 v15, v124, v15                               // 00000001E558: 021E1F7C
	v_add_f32_e32 v15, v125, v15                               // 00000001E55C: 021E1F7D
	v_add_f32_e32 v15, v126, v15                               // 00000001E560: 021E1F7E
	v_add_f32_e32 v15, v127, v15                               // 00000001E564: 021E1F7F
	v_add_f32_e32 v38, v15, v38                                // 00000001E568: 024C4D0F
	s_waitcnt lgkmcnt(0)                                       // 00000001E56C: BF8CC07F
	v_max3_f32 v48, |v64|, |v65|, v48                          // 00000001E570: D1D30330 04C28340
	v_max3_f32 v48, |v66|, |v67|, v48                          // 00000001E578: D1D30330 04C28742
	v_max3_f32 v48, |v68|, |v69|, v48                          // 00000001E580: D1D30330 04C28B44
	v_max3_f32 v48, |v70|, |v71|, v48                          // 00000001E588: D1D30330 04C28F46
	v_max3_f32 v48, |v72|, |v73|, v48                          // 00000001E590: D1D30330 04C29348
	v_max3_f32 v48, |v74|, |v75|, v48                          // 00000001E598: D1D30330 04C2974A
	v_max3_f32 v48, |v76|, |v77|, v48                          // 00000001E5A0: D1D30330 04C29B4C
	v_max3_f32 v48, |v78|, |v79|, v48                          // 00000001E5A8: D1D30330 04C29F4E
	s_nop 2                                                    // 00000001E5B0: BF800002
	v_rcp_f32_e32 v48, v48                                     // 00000001E5B4: 7E604530
	s_nop 1                                                    // 00000001E5B8: BF800001
	v_mul_f32_e32 v48, 0x43e00000, v48                         // 00000001E5BC: 0A6060FF 43E00000
	v_mul_f32_e32 v112, v48, v240                              // 00000001E5C4: 0AE1E130
	v_mul_f32_e32 v113, v48, v241                              // 00000001E5C8: 0AE3E330
	v_mul_f32_e32 v114, v48, v242                              // 00000001E5CC: 0AE5E530
	v_mul_f32_e32 v115, v48, v243                              // 00000001E5D0: 0AE7E730
	v_mul_f32_e32 v116, v48, v244                              // 00000001E5D4: 0AE9E930
	v_mul_f32_e32 v117, v48, v245                              // 00000001E5D8: 0AEBEB30
	v_mul_f32_e32 v118, v48, v246                              // 00000001E5DC: 0AEDED30
	v_mul_f32_e32 v119, v48, v247                              // 00000001E5E0: 0AEFEF30
	v_mul_f32_e32 v120, v48, v248                              // 00000001E5E4: 0AF1F130
	v_mul_f32_e32 v121, v48, v249                              // 00000001E5E8: 0AF3F330
	v_mul_f32_e32 v122, v48, v250                              // 00000001E5EC: 0AF5F530
	v_mul_f32_e32 v123, v48, v251                              // 00000001E5F0: 0AF7F730
	v_mul_f32_e32 v124, v48, v252                              // 00000001E5F4: 0AF9F930
	v_mul_f32_e32 v125, v48, v253                              // 00000001E5F8: 0AFBFB30
	v_mul_f32_e32 v126, v48, v254                              // 00000001E5FC: 0AFDFD30
	v_mul_f32_e32 v127, v48, v255                              // 00000001E600: 0AFFFF30
	v_cvt_pk_fp8_f32 v112, v112, v113                          // 00000001E604: D2A20070 0002E370
	v_cvt_pk_fp8_f32 v112, v114, v115 op_sel:[0,0,1]           // 00000001E60C: D2A24070 0002E772
	v_cvt_pk_fp8_f32 v113, v116, v117                          // 00000001E614: D2A20071 0002EB74
	v_cvt_pk_fp8_f32 v113, v118, v119 op_sel:[0,0,1]           // 00000001E61C: D2A24071 0002EF76
	v_cvt_pk_fp8_f32 v114, v120, v121                          // 00000001E624: D2A20072 0002F378
	v_cvt_pk_fp8_f32 v114, v122, v123 op_sel:[0,0,1]           // 00000001E62C: D2A24072 0002F77A
	v_cvt_pk_fp8_f32 v115, v124, v125                          // 00000001E634: D2A20073 0002FB7C
	v_cvt_pk_fp8_f32 v115, v126, v127 op_sel:[0,0,1]           // 00000001E63C: D2A24073 0002FF7E
	ds_write_b32 v10, v112 offset:25088                        // 00000001E644: D81A6200 0000700A
	ds_write_b32 v10, v113 offset:26112                        // 00000001E64C: D81A6600 0000710A
	ds_write_b32 v10, v114 offset:27136                        // 00000001E654: D81A6A00 0000720A
	ds_write_b32 v10, v115 offset:28160                        // 00000001E65C: D81A6E00 0000730A
	v_add_f32_e32 v208, v208, v176                             // 00000001E664: 03A161D0
	v_add_f32_e32 v209, v209, v177                             // 00000001E668: 03A363D1
	v_add_f32_e32 v210, v210, v178                             // 00000001E66C: 03A565D2
	v_add_f32_e32 v211, v211, v179                             // 00000001E670: 03A767D3
	v_add_f32_e32 v212, v212, v180                             // 00000001E674: 03A969D4
	v_add_f32_e32 v213, v213, v181                             // 00000001E678: 03AB6BD5
	v_add_f32_e32 v214, v214, v182                             // 00000001E67C: 03AD6DD6
	v_add_f32_e32 v215, v215, v183                             // 00000001E680: 03AF6FD7
	v_rcp_f32_e32 v44, v48                                     // 00000001E684: 7E584530
	s_waitcnt lgkmcnt(0)                                       // 00000001E688: BF8CC07F
	s_barrier                                                  // 00000001E68C: BF8A0000
	ds_read_b64 v[112:113], v9 offset:25088                    // 00000001E690: D8EC6200 70000009
	ds_read_b64 v[114:115], v9 offset:25216                    // 00000001E698: D8EC6280 72000009
	ds_read_b64 v[116:117], v9 offset:26112                    // 00000001E6A0: D8EC6600 74000009
	ds_read_b64 v[118:119], v9 offset:26240                    // 00000001E6A8: D8EC6680 76000009
	ds_read_b64 v[120:121], v9 offset:27136                    // 00000001E6B0: D8EC6A00 78000009
	ds_read_b64 v[122:123], v9 offset:27264                    // 00000001E6B8: D8EC6A80 7A000009
	ds_read_b64 v[124:125], v9 offset:28160                    // 00000001E6C0: D8EC6E00 7C000009
	ds_read_b64 v[126:127], v9 offset:28288                    // 00000001E6C8: D8EC6E80 7E000009
	v_mov_b32_dpp v64, v42 row_shr:4 row_mask:0xf bank_mask:0xf// 00000001E6D0: 7E8002FA FF01142A
	v_mov_b32_dpp v65, v42 row_shl:4 row_mask:0xf bank_mask:0xf// 00000001E6D8: 7E8202FA FF01042A
	v_cndmask_b32_e64 v248, v42, v64, s[44:45]                 // 00000001E6E0: D10000F8 00B2812A
	v_cndmask_b32_e64 v249, v65, v42, s[44:45]                 // 00000001E6E8: D10000F9 00B25541
	v_mov_b32_dpp v64, v248 row_shr:8 row_mask:0xf bank_mask:0xf// 00000001E6F0: 7E8002FA FF0118F8
	v_mov_b32_dpp v65, v248 row_shl:8 row_mask:0xf bank_mask:0xf// 00000001E6F8: 7E8202FA FF0108F8
	v_mov_b32_dpp v66, v249 row_shr:8 row_mask:0xf bank_mask:0xf// 00000001E700: 7E8402FA FF0118F9
	v_mov_b32_dpp v67, v249 row_shl:8 row_mask:0xf bank_mask:0xf// 00000001E708: 7E8602FA FF0108F9
	v_mov_b32_e32 v68, v248                                    // 00000001E710: 7E8803F8
	v_mov_b32_e32 v69, v249                                    // 00000001E714: 7E8A03F9
	v_cndmask_b32_e64 v248, v68, v64, s[42:43]                 // 00000001E718: D10000F8 00AA8144
	v_cndmask_b32_e64 v250, v68, v65, s[78:79]                 // 00000001E720: D10000FA 013A8344
	v_cndmask_b32_e64 v249, v69, v66, s[42:43]                 // 00000001E728: D10000F9 00AA8545
	v_cndmask_b32_e64 v251, v69, v67, s[78:79]                 // 00000001E730: D10000FB 013A8745
	v_mov_b32_dpp v64, v57 row_shr:4 row_mask:0xf bank_mask:0xf// 00000001E738: 7E8002FA FF011439
	v_mov_b32_dpp v65, v57 row_shl:4 row_mask:0xf bank_mask:0xf// 00000001E740: 7E8202FA FF010439
	v_cndmask_b32_e64 v252, v57, v64, s[44:45]                 // 00000001E748: D10000FC 00B28139
	v_cndmask_b32_e64 v253, v65, v57, s[44:45]                 // 00000001E750: D10000FD 00B27341
	v_mov_b32_dpp v64, v252 row_shr:8 row_mask:0xf bank_mask:0xf// 00000001E758: 7E8002FA FF0118FC
	v_mov_b32_dpp v65, v252 row_shl:8 row_mask:0xf bank_mask:0xf// 00000001E760: 7E8202FA FF0108FC
	v_mov_b32_dpp v66, v253 row_shr:8 row_mask:0xf bank_mask:0xf// 00000001E768: 7E8402FA FF0118FD
	v_mov_b32_dpp v67, v253 row_shl:8 row_mask:0xf bank_mask:0xf// 00000001E770: 7E8602FA FF0108FD
	v_mov_b32_e32 v68, v252                                    // 00000001E778: 7E8803FC
	v_mov_b32_e32 v69, v253                                    // 00000001E77C: 7E8A03FD
	v_cndmask_b32_e64 v252, v68, v64, s[42:43]                 // 00000001E780: D10000FC 00AA8144
	v_cndmask_b32_e64 v254, v68, v65, s[78:79]                 // 00000001E788: D10000FE 013A8344
	v_cndmask_b32_e64 v253, v69, v66, s[42:43]                 // 00000001E790: D10000FD 00AA8545
	v_cndmask_b32_e64 v255, v69, v67, s[78:79]                 // 00000001E798: D10000FF 013A8745
	v_mul_f32_e32 v128, v19, v128                              // 00000001E7A0: 0B010113
	v_mul_f32_e32 v129, v19, v129                              // 00000001E7A4: 0B030313
	v_mul_f32_e32 v130, v19, v130                              // 00000001E7A8: 0B050513
	v_mul_f32_e32 v131, v19, v131                              // 00000001E7AC: 0B070713
	v_mul_f32_e32 v132, v19, v132                              // 00000001E7B0: 0B090913
	v_mul_f32_e32 v133, v19, v133                              // 00000001E7B4: 0B0B0B13
	v_mul_f32_e32 v134, v19, v134                              // 00000001E7B8: 0B0D0D13
	v_mul_f32_e32 v135, v19, v135                              // 00000001E7BC: 0B0F0F13
	v_mul_f32_e32 v136, v19, v136                              // 00000001E7C0: 0B111113
	v_mul_f32_e32 v137, v19, v137                              // 00000001E7C4: 0B131313
	v_mul_f32_e32 v138, v19, v138                              // 00000001E7C8: 0B151513
	v_mul_f32_e32 v139, v19, v139                              // 00000001E7CC: 0B171713
	v_mul_f32_e32 v140, v19, v140                              // 00000001E7D0: 0B191913
	v_mul_f32_e32 v141, v19, v141                              // 00000001E7D4: 0B1B1B13
	v_mul_f32_e32 v142, v19, v142                              // 00000001E7D8: 0B1D1D13
	v_mul_f32_e32 v143, v19, v143                              // 00000001E7DC: 0B1F1F13
	v_mul_f32_dpp v128, v248, v128 quad_perm:[0,0,0,0] row_mask:0xf bank_mask:0xf// 00000001E7E0: 0B0100FA FF0000F8
	v_mul_f32_dpp v129, v248, v129 quad_perm:[1,1,1,1] row_mask:0xf bank_mask:0xf// 00000001E7E8: 0B0302FA FF0055F8
	v_mul_f32_dpp v130, v248, v130 quad_perm:[2,2,2,2] row_mask:0xf bank_mask:0xf// 00000001E7F0: 0B0504FA FF00AAF8
	v_mul_f32_dpp v131, v248, v131 quad_perm:[3,3,3,3] row_mask:0xf bank_mask:0xf// 00000001E7F8: 0B0706FA FF00FFF8
	v_mul_f32_dpp v132, v249, v132 quad_perm:[0,0,0,0] row_mask:0xf bank_mask:0xf// 00000001E800: 0B0908FA FF0000F9
	v_mul_f32_dpp v133, v249, v133 quad_perm:[1,1,1,1] row_mask:0xf bank_mask:0xf// 00000001E808: 0B0B0AFA FF0055F9
	v_mul_f32_dpp v134, v249, v134 quad_perm:[2,2,2,2] row_mask:0xf bank_mask:0xf// 00000001E810: 0B0D0CFA FF00AAF9
	v_mul_f32_dpp v135, v249, v135 quad_perm:[3,3,3,3] row_mask:0xf bank_mask:0xf// 00000001E818: 0B0F0EFA FF00FFF9
	v_mul_f32_dpp v136, v250, v136 quad_perm:[0,0,0,0] row_mask:0xf bank_mask:0xf// 00000001E820: 0B1110FA FF0000FA
	v_mul_f32_dpp v137, v250, v137 quad_perm:[1,1,1,1] row_mask:0xf bank_mask:0xf// 00000001E828: 0B1312FA FF0055FA
	v_mul_f32_dpp v138, v250, v138 quad_perm:[2,2,2,2] row_mask:0xf bank_mask:0xf// 00000001E830: 0B1514FA FF00AAFA
	v_mul_f32_dpp v139, v250, v139 quad_perm:[3,3,3,3] row_mask:0xf bank_mask:0xf// 00000001E838: 0B1716FA FF00FFFA
	v_mul_f32_dpp v140, v251, v140 quad_perm:[0,0,0,0] row_mask:0xf bank_mask:0xf// 00000001E840: 0B1918FA FF0000FB
	v_mul_f32_dpp v141, v251, v141 quad_perm:[1,1,1,1] row_mask:0xf bank_mask:0xf// 00000001E848: 0B1B1AFA FF0055FB
	v_mul_f32_dpp v142, v251, v142 quad_perm:[2,2,2,2] row_mask:0xf bank_mask:0xf// 00000001E850: 0B1D1CFA FF00AAFB
	v_mul_f32_dpp v143, v251, v143 quad_perm:[3,3,3,3] row_mask:0xf bank_mask:0xf// 00000001E858: 0B1F1EFA FF00FFFB
	v_mov_b32_e32 v48, v128                                    // 00000001E860: 7E600380
	v_max3_f32 v48, v128, v129, v48                            // 00000001E864: D1D30030 04C30380
	v_max3_f32 v48, v130, v131, v48                            // 00000001E86C: D1D30030 04C30782
	v_max3_f32 v48, v132, v133, v48                            // 00000001E874: D1D30030 04C30B84
	v_max3_f32 v48, v134, v135, v48                            // 00000001E87C: D1D30030 04C30F86
	v_max3_f32 v48, v136, v137, v48                            // 00000001E884: D1D30030 04C31388
	v_max3_f32 v48, v138, v139, v48                            // 00000001E88C: D1D30030 04C3178A
	v_max3_f32 v48, v140, v141, v48                            // 00000001E894: D1D30030 04C31B8C
	v_max3_f32 v48, v142, v143, v48                            // 00000001E89C: D1D30030 04C31F8E
	ds_write_b32 v8, v48 offset:16896                          // 00000001E8A4: D81A4200 00003008
	v_mul_f32_e32 v216, v50, v216                              // 00000001E8AC: 0BB1B132
	v_mul_f32_e32 v217, v50, v217                              // 00000001E8B0: 0BB3B332
	v_mul_f32_e32 v218, v50, v218                              // 00000001E8B4: 0BB5B532
	v_mul_f32_e32 v219, v50, v219                              // 00000001E8B8: 0BB7B732
	v_mul_f32_e32 v220, v50, v220                              // 00000001E8BC: 0BB9B932
	v_mul_f32_e32 v221, v50, v221                              // 00000001E8C0: 0BBBBB32
	v_mul_f32_e32 v222, v50, v222                              // 00000001E8C4: 0BBDBD32
	v_mul_f32_e32 v223, v50, v223                              // 00000001E8C8: 0BBFBF32
	s_waitcnt lgkmcnt(0)                                       // 00000001E8CC: BF8CC07F
	s_barrier                                                  // 00000001E8D0: BF8A0000
	ds_read_b32 v64, v7 offset:16896                           // 00000001E8D4: D86C4200 40000007
	ds_read_b32 v65, v7 offset:16960                           // 00000001E8DC: D86C4240 41000007
	ds_read_b32 v66, v7 offset:17024                           // 00000001E8E4: D86C4280 42000007
	ds_read_b32 v67, v7 offset:17088                           // 00000001E8EC: D86C42C0 43000007
	ds_read_b32 v68, v7 offset:17152                           // 00000001E8F4: D86C4300 44000007
	ds_read_b32 v69, v7 offset:17216                           // 00000001E8FC: D86C4340 45000007
	ds_read_b32 v70, v7 offset:17280                           // 00000001E904: D86C4380 46000007
	ds_read_b32 v71, v7 offset:17344                           // 00000001E90C: D86C43C0 47000007
	ds_read_b32 v72, v7 offset:17408                           // 00000001E914: D86C4400 48000007
	ds_read_b32 v73, v7 offset:17472                           // 00000001E91C: D86C4440 49000007
	ds_read_b32 v74, v7 offset:17536                           // 00000001E924: D86C4480 4A000007
	ds_read_b32 v75, v7 offset:17600                           // 00000001E92C: D86C44C0 4B000007
	ds_read_b32 v76, v7 offset:17664                           // 00000001E934: D86C4500 4C000007
	ds_read_b32 v77, v7 offset:17728                           // 00000001E93C: D86C4540 4D000007
	ds_read_b32 v78, v7 offset:17792                           // 00000001E944: D86C4580 4E000007
	ds_read_b32 v79, v7 offset:17856                           // 00000001E94C: D86C45C0 4F000007
	v_mul_f32_e32 v184, v45, v184                              // 00000001E954: 0B71712D
	v_mul_f32_e32 v185, v45, v185                              // 00000001E958: 0B73732D
	v_mul_f32_e32 v186, v45, v186                              // 00000001E95C: 0B75752D
	v_mul_f32_e32 v187, v45, v187                              // 00000001E960: 0B77772D
	v_mul_f32_e32 v188, v45, v188                              // 00000001E964: 0B79792D
	v_mul_f32_e32 v189, v45, v189                              // 00000001E968: 0B7B7B2D
	v_mul_f32_e32 v190, v45, v190                              // 00000001E96C: 0B7D7D2D
	v_mul_f32_e32 v191, v45, v191                              // 00000001E970: 0B7F7F2D
	s_waitcnt lgkmcnt(0)                                       // 00000001E974: BF8CC07F
	v_max3_f32 v48, v64, v65, v48                              // 00000001E978: D1D30030 04C28340
	v_max3_f32 v48, v66, v67, v48                              // 00000001E980: D1D30030 04C28742
	v_max3_f32 v48, v68, v69, v48                              // 00000001E988: D1D30030 04C28B44
	v_max3_f32 v48, v70, v71, v48                              // 00000001E990: D1D30030 04C28F46
	v_max3_f32 v48, v72, v73, v48                              // 00000001E998: D1D30030 04C29348
	v_max3_f32 v48, v74, v75, v48                              // 00000001E9A0: D1D30030 04C2974A
	v_max3_f32 v48, v76, v77, v48                              // 00000001E9A8: D1D30030 04C29B4C
	v_max3_f32 v48, v78, v79, v48                              // 00000001E9B0: D1D30030 04C29F4E
	v_mov_b32_e32 v64, 0xff800000                              // 00000001E9B8: 7E8002FF FF800000
	v_cmp_eq_u32_e64 s[40:41], v64, v12                        // 00000001E9C0: D0CA0028 00021940
	s_nop 1                                                    // 00000001E9C8: BF800001
	v_max_f32_e32 v15, v48, v12                                // 00000001E9CC: 161E1930
	v_mul_f32_e32 v53, s64, v15                                // 00000001E9D0: 0A6A1E40
	v_fma_f32 v128, v128, s64, -v53                            // 00000001E9D4: D1CB0080 84D48180
	v_fma_f32 v129, v129, s64, -v53                            // 00000001E9DC: D1CB0081 84D48181
	v_fma_f32 v130, v130, s64, -v53                            // 00000001E9E4: D1CB0082 84D48182
	v_fma_f32 v131, v131, s64, -v53                            // 00000001E9EC: D1CB0083 84D48183
	v_fma_f32 v132, v132, s64, -v53                            // 00000001E9F4: D1CB0084 84D48184
	v_fma_f32 v133, v133, s64, -v53                            // 00000001E9FC: D1CB0085 84D48185
	v_fma_f32 v134, v134, s64, -v53                            // 00000001EA04: D1CB0086 84D48186
	v_fma_f32 v135, v135, s64, -v53                            // 00000001EA0C: D1CB0087 84D48187
	v_fma_f32 v136, v136, s64, -v53                            // 00000001EA14: D1CB0088 84D48188
	v_fma_f32 v137, v137, s64, -v53                            // 00000001EA1C: D1CB0089 84D48189
	v_fma_f32 v138, v138, s64, -v53                            // 00000001EA24: D1CB008A 84D4818A
	v_fma_f32 v139, v139, s64, -v53                            // 00000001EA2C: D1CB008B 84D4818B
	v_fma_f32 v140, v140, s64, -v53                            // 00000001EA34: D1CB008C 84D4818C
	v_fma_f32 v141, v141, s64, -v53                            // 00000001EA3C: D1CB008D 84D4818D
	v_fma_f32 v142, v142, s64, -v53                            // 00000001EA44: D1CB008E 84D4818E
	v_fma_f32 v143, v143, s64, -v53                            // 00000001EA4C: D1CB008F 84D4818F
	v_exp_f32_e32 v128, v128                                   // 00000001EA54: 7F004180
	v_exp_f32_e32 v129, v129                                   // 00000001EA58: 7F024181
	v_exp_f32_e32 v130, v130                                   // 00000001EA5C: 7F044182
	v_exp_f32_e32 v131, v131                                   // 00000001EA60: 7F064183
	v_exp_f32_e32 v132, v132                                   // 00000001EA64: 7F084184
	v_exp_f32_e32 v133, v133                                   // 00000001EA68: 7F0A4185
	v_exp_f32_e32 v134, v134                                   // 00000001EA6C: 7F0C4186
	v_exp_f32_e32 v135, v135                                   // 00000001EA70: 7F0E4187
	v_exp_f32_e32 v136, v136                                   // 00000001EA74: 7F104188
	v_exp_f32_e32 v137, v137                                   // 00000001EA78: 7F124189
	v_exp_f32_e32 v138, v138                                   // 00000001EA7C: 7F14418A
	v_exp_f32_e32 v139, v139                                   // 00000001EA80: 7F16418B
	v_exp_f32_e32 v140, v140                                   // 00000001EA84: 7F18418C
	v_exp_f32_e32 v141, v141                                   // 00000001EA88: 7F1A418D
	v_exp_f32_e32 v142, v142                                   // 00000001EA8C: 7F1C418E
	v_exp_f32_e32 v143, v143                                   // 00000001EA90: 7F1E418F
	v_mul_f32_dpp v240, v252, v128 quad_perm:[0,0,0,0] row_mask:0xf bank_mask:0xf// 00000001EA94: 0BE100FA FF0000FC
	v_mul_f32_dpp v241, v252, v129 quad_perm:[1,1,1,1] row_mask:0xf bank_mask:0xf// 00000001EA9C: 0BE302FA FF0055FC
	v_mul_f32_dpp v242, v252, v130 quad_perm:[2,2,2,2] row_mask:0xf bank_mask:0xf// 00000001EAA4: 0BE504FA FF00AAFC
	v_mul_f32_dpp v243, v252, v131 quad_perm:[3,3,3,3] row_mask:0xf bank_mask:0xf// 00000001EAAC: 0BE706FA FF00FFFC
	v_mul_f32_dpp v244, v253, v132 quad_perm:[0,0,0,0] row_mask:0xf bank_mask:0xf// 00000001EAB4: 0BE908FA FF0000FD
	v_mul_f32_dpp v245, v253, v133 quad_perm:[1,1,1,1] row_mask:0xf bank_mask:0xf// 00000001EABC: 0BEB0AFA FF0055FD
	v_mul_f32_dpp v246, v253, v134 quad_perm:[2,2,2,2] row_mask:0xf bank_mask:0xf// 00000001EAC4: 0BED0CFA FF00AAFD
	v_mul_f32_dpp v247, v253, v135 quad_perm:[3,3,3,3] row_mask:0xf bank_mask:0xf// 00000001EACC: 0BEF0EFA FF00FFFD
	v_mul_f32_dpp v248, v254, v136 quad_perm:[0,0,0,0] row_mask:0xf bank_mask:0xf// 00000001EAD4: 0BF110FA FF0000FE
	v_mul_f32_dpp v249, v254, v137 quad_perm:[1,1,1,1] row_mask:0xf bank_mask:0xf// 00000001EADC: 0BF312FA FF0055FE
	v_mul_f32_dpp v250, v254, v138 quad_perm:[2,2,2,2] row_mask:0xf bank_mask:0xf// 00000001EAE4: 0BF514FA FF00AAFE
	v_mul_f32_dpp v251, v254, v139 quad_perm:[3,3,3,3] row_mask:0xf bank_mask:0xf// 00000001EAEC: 0BF716FA FF00FFFE
	v_mul_f32_dpp v252, v255, v140 quad_perm:[0,0,0,0] row_mask:0xf bank_mask:0xf// 00000001EAF4: 0BF918FA FF0000FF
	v_mul_f32_dpp v253, v255, v141 quad_perm:[1,1,1,1] row_mask:0xf bank_mask:0xf// 00000001EAFC: 0BFB1AFA FF0055FF
	v_mul_f32_dpp v254, v255, v142 quad_perm:[2,2,2,2] row_mask:0xf bank_mask:0xf// 00000001EB04: 0BFD1CFA FF00AAFF
	v_mul_f32_dpp v255, v255, v143 quad_perm:[3,3,3,3] row_mask:0xf bank_mask:0xf// 00000001EB0C: 0BFF1EFA FF00FFFF
	v_mov_b32_e32 v48, 0x358637bd                              // 00000001EB14: 7E6002FF 358637BD
	v_max3_f32 v48, |v240|, |v241|, v48                        // 00000001EB1C: D1D30330 04C3E3F0
	v_max3_f32 v48, |v242|, |v243|, v48                        // 00000001EB24: D1D30330 04C3E7F2
	v_max3_f32 v48, |v244|, |v245|, v48                        // 00000001EB2C: D1D30330 04C3EBF4
	v_max3_f32 v48, |v246|, |v247|, v48                        // 00000001EB34: D1D30330 04C3EFF6
	v_max3_f32 v48, |v248|, |v249|, v48                        // 00000001EB3C: D1D30330 04C3F3F8
	v_max3_f32 v48, |v250|, |v251|, v48                        // 00000001EB44: D1D30330 04C3F7FA
	v_max3_f32 v48, |v252|, |v253|, v48                        // 00000001EB4C: D1D30330 04C3FBFC
	v_max3_f32 v48, |v254|, |v255|, v48                        // 00000001EB54: D1D30330 04C3FFFE
	ds_write_b32 v8, v48 offset:20992                          // 00000001EB5C: D81A5200 00003008
	v_sub_f32_e32 v50, v12, v15                                // 00000001EB64: 04641F0C
	v_cndmask_b32_e64 v50, v50, 0, s[40:41]                    // 00000001EB68: D1000032 00A10132
	v_mov_b32_e32 v12, v15                                     // 00000001EB70: 7E18030F
	v_mul_f32_e32 v50, s64, v50                                // 00000001EB74: 0A646440
	v_exp_f32_e32 v50, v50                                     // 00000001EB78: 7E644132
	s_waitcnt lgkmcnt(0)                                       // 00000001EB7C: BF8CC07F
	s_barrier                                                  // 00000001EB80: BF8A0000
	ds_read_b32 v64, v7 offset:20992                           // 00000001EB84: D86C5200 40000007
	ds_read_b32 v65, v7 offset:21056                           // 00000001EB8C: D86C5240 41000007
	ds_read_b32 v66, v7 offset:21120                           // 00000001EB94: D86C5280 42000007
	ds_read_b32 v67, v7 offset:21184                           // 00000001EB9C: D86C52C0 43000007
	ds_read_b32 v68, v7 offset:21248                           // 00000001EBA4: D86C5300 44000007
	ds_read_b32 v69, v7 offset:21312                           // 00000001EBAC: D86C5340 45000007
	ds_read_b32 v70, v7 offset:21376                           // 00000001EBB4: D86C5380 46000007
	ds_read_b32 v71, v7 offset:21440                           // 00000001EBBC: D86C53C0 47000007
	ds_read_b32 v72, v7 offset:21504                           // 00000001EBC4: D86C5400 48000007
	ds_read_b32 v73, v7 offset:21568                           // 00000001EBCC: D86C5440 49000007
	ds_read_b32 v74, v7 offset:21632                           // 00000001EBD4: D86C5480 4A000007
	ds_read_b32 v75, v7 offset:21696                           // 00000001EBDC: D86C54C0 4B000007
	ds_read_b32 v76, v7 offset:21760                           // 00000001EBE4: D86C5500 4C000007
	ds_read_b32 v77, v7 offset:21824                           // 00000001EBEC: D86C5540 4D000007
	ds_read_b32 v78, v7 offset:21888                           // 00000001EBF4: D86C5580 4E000007
	ds_read_b32 v79, v7 offset:21952                           // 00000001EBFC: D86C55C0 4F000007
	v_mul_f32_e32 v39, v50, v39                                // 00000001EC04: 0A4E4F32
	v_mov_b32_e32 v15, v128                                    // 00000001EC08: 7E1E0380
	v_add_f32_e32 v15, v129, v15                               // 00000001EC0C: 021E1F81
	v_add_f32_e32 v15, v130, v15                               // 00000001EC10: 021E1F82
	v_add_f32_e32 v15, v131, v15                               // 00000001EC14: 021E1F83
	v_add_f32_e32 v15, v132, v15                               // 00000001EC18: 021E1F84
	v_add_f32_e32 v15, v133, v15                               // 00000001EC1C: 021E1F85
	v_add_f32_e32 v15, v134, v15                               // 00000001EC20: 021E1F86
	v_add_f32_e32 v15, v135, v15                               // 00000001EC24: 021E1F87
	v_add_f32_e32 v15, v136, v15                               // 00000001EC28: 021E1F88
	v_add_f32_e32 v15, v137, v15                               // 00000001EC2C: 021E1F89
	v_add_f32_e32 v15, v138, v15                               // 00000001EC30: 021E1F8A
	v_add_f32_e32 v15, v139, v15                               // 00000001EC34: 021E1F8B
	v_add_f32_e32 v15, v140, v15                               // 00000001EC38: 021E1F8C
	v_add_f32_e32 v15, v141, v15                               // 00000001EC3C: 021E1F8D
	v_add_f32_e32 v15, v142, v15                               // 00000001EC40: 021E1F8E
	v_add_f32_e32 v15, v143, v15                               // 00000001EC44: 021E1F8F
	v_add_f32_e32 v39, v15, v39                                // 00000001EC48: 024E4F0F
	s_waitcnt lgkmcnt(0)                                       // 00000001EC4C: BF8CC07F
	v_max3_f32 v48, |v64|, |v65|, v48                          // 00000001EC50: D1D30330 04C28340
	v_max3_f32 v48, |v66|, |v67|, v48                          // 00000001EC58: D1D30330 04C28742
	v_max3_f32 v48, |v68|, |v69|, v48                          // 00000001EC60: D1D30330 04C28B44
	v_max3_f32 v48, |v70|, |v71|, v48                          // 00000001EC68: D1D30330 04C28F46
	v_max3_f32 v48, |v72|, |v73|, v48                          // 00000001EC70: D1D30330 04C29348
	v_max3_f32 v48, |v74|, |v75|, v48                          // 00000001EC78: D1D30330 04C2974A
	v_max3_f32 v48, |v76|, |v77|, v48                          // 00000001EC80: D1D30330 04C29B4C
	v_max3_f32 v48, |v78|, |v79|, v48                          // 00000001EC88: D1D30330 04C29F4E
	s_nop 2                                                    // 00000001EC90: BF800002
	v_rcp_f32_e32 v48, v48                                     // 00000001EC94: 7E604530
	s_nop 1                                                    // 00000001EC98: BF800001
	v_mul_f32_e32 v48, 0x43e00000, v48                         // 00000001EC9C: 0A6060FF 43E00000
	v_mul_f32_e32 v128, v48, v240                              // 00000001ECA4: 0B01E130
	v_mul_f32_e32 v129, v48, v241                              // 00000001ECA8: 0B03E330
	v_mul_f32_e32 v130, v48, v242                              // 00000001ECAC: 0B05E530
	v_mul_f32_e32 v131, v48, v243                              // 00000001ECB0: 0B07E730
	v_mul_f32_e32 v132, v48, v244                              // 00000001ECB4: 0B09E930
	v_mul_f32_e32 v133, v48, v245                              // 00000001ECB8: 0B0BEB30
	v_mul_f32_e32 v134, v48, v246                              // 00000001ECBC: 0B0DED30
	v_mul_f32_e32 v135, v48, v247                              // 00000001ECC0: 0B0FEF30
	v_mul_f32_e32 v136, v48, v248                              // 00000001ECC4: 0B11F130
	v_mul_f32_e32 v137, v48, v249                              // 00000001ECC8: 0B13F330
	v_mul_f32_e32 v138, v48, v250                              // 00000001ECCC: 0B15F530
	v_mul_f32_e32 v139, v48, v251                              // 00000001ECD0: 0B17F730
	v_mul_f32_e32 v140, v48, v252                              // 00000001ECD4: 0B19F930
	v_mul_f32_e32 v141, v48, v253                              // 00000001ECD8: 0B1BFB30
	v_mul_f32_e32 v142, v48, v254                              // 00000001ECDC: 0B1DFD30
	v_mul_f32_e32 v143, v48, v255                              // 00000001ECE0: 0B1FFF30
	v_cvt_pk_fp8_f32 v128, v128, v129                          // 00000001ECE4: D2A20080 00030380
	v_cvt_pk_fp8_f32 v128, v130, v131 op_sel:[0,0,1]           // 00000001ECEC: D2A24080 00030782
	v_cvt_pk_fp8_f32 v129, v132, v133                          // 00000001ECF4: D2A20081 00030B84
	v_cvt_pk_fp8_f32 v129, v134, v135 op_sel:[0,0,1]           // 00000001ECFC: D2A24081 00030F86
	v_cvt_pk_fp8_f32 v130, v136, v137                          // 00000001ED04: D2A20082 00031388
	v_cvt_pk_fp8_f32 v130, v138, v139 op_sel:[0,0,1]           // 00000001ED0C: D2A24082 0003178A
	v_cvt_pk_fp8_f32 v131, v140, v141                          // 00000001ED14: D2A20083 00031B8C
	v_cvt_pk_fp8_f32 v131, v142, v143 op_sel:[0,0,1]           // 00000001ED1C: D2A24083 00031F8E
	ds_write_b32 v10, v128 offset:29184                        // 00000001ED24: D81A7200 0000800A
	ds_write_b32 v10, v129 offset:30208                        // 00000001ED2C: D81A7600 0000810A
	ds_write_b32 v10, v130 offset:31232                        // 00000001ED34: D81A7A00 0000820A
	ds_write_b32 v10, v131 offset:32256                        // 00000001ED3C: D81A7E00 0000830A
	v_add_f32_e32 v216, v216, v184                             // 00000001ED44: 03B171D8
	v_add_f32_e32 v217, v217, v185                             // 00000001ED48: 03B373D9
	v_add_f32_e32 v218, v218, v186                             // 00000001ED4C: 03B575DA
	v_add_f32_e32 v219, v219, v187                             // 00000001ED50: 03B777DB
	v_add_f32_e32 v220, v220, v188                             // 00000001ED54: 03B979DC
	v_add_f32_e32 v221, v221, v189                             // 00000001ED58: 03BB7BDD
	v_add_f32_e32 v222, v222, v190                             // 00000001ED5C: 03BD7DDE
	v_add_f32_e32 v223, v223, v191                             // 00000001ED60: 03BF7FDF
	v_rcp_f32_e32 v45, v48                                     // 00000001ED64: 7E5A4530
	s_waitcnt lgkmcnt(0)                                       // 00000001ED68: BF8CC07F
	s_barrier                                                  // 00000001ED6C: BF8A0000
	ds_read_b64 v[128:129], v9 offset:29184                    // 00000001ED70: D8EC7200 80000009
	ds_read_b64 v[130:131], v9 offset:29312                    // 00000001ED78: D8EC7280 82000009
	ds_read_b64 v[132:133], v9 offset:30208                    // 00000001ED80: D8EC7600 84000009
	ds_read_b64 v[134:135], v9 offset:30336                    // 00000001ED88: D8EC7680 86000009
	ds_read_b64 v[136:137], v9 offset:31232                    // 00000001ED90: D8EC7A00 88000009
	ds_read_b64 v[138:139], v9 offset:31360                    // 00000001ED98: D8EC7A80 8A000009
	ds_read_b64 v[140:141], v9 offset:32256                    // 00000001EDA0: D8EC7E00 8C000009
	ds_read_b64 v[142:143], v9 offset:32384                    // 00000001EDA8: D8EC7E80 8E000009
	v_mov_b32_dpp v64, v42 row_shr:4 row_mask:0xf bank_mask:0xf// 00000001EDB0: 7E8002FA FF01142A
	v_mov_b32_dpp v65, v42 row_shl:4 row_mask:0xf bank_mask:0xf// 00000001EDB8: 7E8202FA FF01042A
	v_cndmask_b32_e64 v248, v42, v64, s[44:45]                 // 00000001EDC0: D10000F8 00B2812A
	v_cndmask_b32_e64 v249, v65, v42, s[44:45]                 // 00000001EDC8: D10000F9 00B25541
	v_mov_b32_dpp v64, v248 row_shr:8 row_mask:0xf bank_mask:0xf// 00000001EDD0: 7E8002FA FF0118F8
	v_mov_b32_dpp v65, v248 row_shl:8 row_mask:0xf bank_mask:0xf// 00000001EDD8: 7E8202FA FF0108F8
	v_mov_b32_dpp v66, v249 row_shr:8 row_mask:0xf bank_mask:0xf// 00000001EDE0: 7E8402FA FF0118F9
	v_mov_b32_dpp v67, v249 row_shl:8 row_mask:0xf bank_mask:0xf// 00000001EDE8: 7E8602FA FF0108F9
	v_mov_b32_e32 v68, v248                                    // 00000001EDF0: 7E8803F8
	v_mov_b32_e32 v69, v249                                    // 00000001EDF4: 7E8A03F9
	v_cndmask_b32_e64 v248, v68, v64, s[42:43]                 // 00000001EDF8: D10000F8 00AA8144
	v_cndmask_b32_e64 v250, v68, v65, s[78:79]                 // 00000001EE00: D10000FA 013A8344
	v_cndmask_b32_e64 v249, v69, v66, s[42:43]                 // 00000001EE08: D10000F9 00AA8545
	v_cndmask_b32_e64 v251, v69, v67, s[78:79]                 // 00000001EE10: D10000FB 013A8745
	v_mov_b32_dpp v64, v57 row_shr:4 row_mask:0xf bank_mask:0xf// 00000001EE18: 7E8002FA FF011439
	v_mov_b32_dpp v65, v57 row_shl:4 row_mask:0xf bank_mask:0xf// 00000001EE20: 7E8202FA FF010439
	v_cndmask_b32_e64 v252, v57, v64, s[44:45]                 // 00000001EE28: D10000FC 00B28139
	v_cndmask_b32_e64 v253, v65, v57, s[44:45]                 // 00000001EE30: D10000FD 00B27341
	v_mov_b32_dpp v64, v252 row_shr:8 row_mask:0xf bank_mask:0xf// 00000001EE38: 7E8002FA FF0118FC
	v_mov_b32_dpp v65, v252 row_shl:8 row_mask:0xf bank_mask:0xf// 00000001EE40: 7E8202FA FF0108FC
	v_mov_b32_dpp v66, v253 row_shr:8 row_mask:0xf bank_mask:0xf// 00000001EE48: 7E8402FA FF0118FD
	v_mov_b32_dpp v67, v253 row_shl:8 row_mask:0xf bank_mask:0xf// 00000001EE50: 7E8602FA FF0108FD
	v_mov_b32_e32 v68, v252                                    // 00000001EE58: 7E8803FC
	v_mov_b32_e32 v69, v253                                    // 00000001EE5C: 7E8A03FD
	v_cndmask_b32_e64 v252, v68, v64, s[42:43]                 // 00000001EE60: D10000FC 00AA8144
	v_cndmask_b32_e64 v254, v68, v65, s[78:79]                 // 00000001EE68: D10000FE 013A8344
	v_cndmask_b32_e64 v253, v69, v66, s[42:43]                 // 00000001EE70: D10000FD 00AA8545
	v_cndmask_b32_e64 v255, v69, v67, s[78:79]                 // 00000001EE78: D10000FF 013A8745
	v_mul_f32_e32 v144, v20, v144                              // 00000001EE80: 0B212114
	v_mul_f32_e32 v145, v20, v145                              // 00000001EE84: 0B232314
	v_mul_f32_e32 v146, v20, v146                              // 00000001EE88: 0B252514
	v_mul_f32_e32 v147, v20, v147                              // 00000001EE8C: 0B272714
	v_mul_f32_e32 v148, v20, v148                              // 00000001EE90: 0B292914
	v_mul_f32_e32 v149, v20, v149                              // 00000001EE94: 0B2B2B14
	v_mul_f32_e32 v150, v20, v150                              // 00000001EE98: 0B2D2D14
	v_mul_f32_e32 v151, v20, v151                              // 00000001EE9C: 0B2F2F14
	v_mul_f32_e32 v152, v20, v152                              // 00000001EEA0: 0B313114
	v_mul_f32_e32 v153, v20, v153                              // 00000001EEA4: 0B333314
	v_mul_f32_e32 v154, v20, v154                              // 00000001EEA8: 0B353514
	v_mul_f32_e32 v155, v20, v155                              // 00000001EEAC: 0B373714
	v_mul_f32_e32 v156, v20, v156                              // 00000001EEB0: 0B393914
	v_mul_f32_e32 v157, v20, v157                              // 00000001EEB4: 0B3B3B14
	v_mul_f32_e32 v158, v20, v158                              // 00000001EEB8: 0B3D3D14
	v_mul_f32_e32 v159, v20, v159                              // 00000001EEBC: 0B3F3F14
	v_mul_f32_dpp v144, v248, v144 quad_perm:[0,0,0,0] row_mask:0xf bank_mask:0xf// 00000001EEC0: 0B2120FA FF0000F8
	v_mul_f32_dpp v145, v248, v145 quad_perm:[1,1,1,1] row_mask:0xf bank_mask:0xf// 00000001EEC8: 0B2322FA FF0055F8
	v_mul_f32_dpp v146, v248, v146 quad_perm:[2,2,2,2] row_mask:0xf bank_mask:0xf// 00000001EED0: 0B2524FA FF00AAF8
	v_mul_f32_dpp v147, v248, v147 quad_perm:[3,3,3,3] row_mask:0xf bank_mask:0xf// 00000001EED8: 0B2726FA FF00FFF8
	v_mul_f32_dpp v148, v249, v148 quad_perm:[0,0,0,0] row_mask:0xf bank_mask:0xf// 00000001EEE0: 0B2928FA FF0000F9
	v_mul_f32_dpp v149, v249, v149 quad_perm:[1,1,1,1] row_mask:0xf bank_mask:0xf// 00000001EEE8: 0B2B2AFA FF0055F9
	v_mul_f32_dpp v150, v249, v150 quad_perm:[2,2,2,2] row_mask:0xf bank_mask:0xf// 00000001EEF0: 0B2D2CFA FF00AAF9
	v_mul_f32_dpp v151, v249, v151 quad_perm:[3,3,3,3] row_mask:0xf bank_mask:0xf// 00000001EEF8: 0B2F2EFA FF00FFF9
	v_mul_f32_dpp v152, v250, v152 quad_perm:[0,0,0,0] row_mask:0xf bank_mask:0xf// 00000001EF00: 0B3130FA FF0000FA
	v_mul_f32_dpp v153, v250, v153 quad_perm:[1,1,1,1] row_mask:0xf bank_mask:0xf// 00000001EF08: 0B3332FA FF0055FA
	v_mul_f32_dpp v154, v250, v154 quad_perm:[2,2,2,2] row_mask:0xf bank_mask:0xf// 00000001EF10: 0B3534FA FF00AAFA
	v_mul_f32_dpp v155, v250, v155 quad_perm:[3,3,3,3] row_mask:0xf bank_mask:0xf// 00000001EF18: 0B3736FA FF00FFFA
	v_mul_f32_dpp v156, v251, v156 quad_perm:[0,0,0,0] row_mask:0xf bank_mask:0xf// 00000001EF20: 0B3938FA FF0000FB
	v_mul_f32_dpp v157, v251, v157 quad_perm:[1,1,1,1] row_mask:0xf bank_mask:0xf// 00000001EF28: 0B3B3AFA FF0055FB
	v_mul_f32_dpp v158, v251, v158 quad_perm:[2,2,2,2] row_mask:0xf bank_mask:0xf// 00000001EF30: 0B3D3CFA FF00AAFB
	v_mul_f32_dpp v159, v251, v159 quad_perm:[3,3,3,3] row_mask:0xf bank_mask:0xf// 00000001EF38: 0B3F3EFA FF00FFFB
	v_mov_b32_e32 v48, v144                                    // 00000001EF40: 7E600390
	v_max3_f32 v48, v144, v145, v48                            // 00000001EF44: D1D30030 04C32390
	v_max3_f32 v48, v146, v147, v48                            // 00000001EF4C: D1D30030 04C32792
	v_max3_f32 v48, v148, v149, v48                            // 00000001EF54: D1D30030 04C32B94
	v_max3_f32 v48, v150, v151, v48                            // 00000001EF5C: D1D30030 04C32F96
	v_max3_f32 v48, v152, v153, v48                            // 00000001EF64: D1D30030 04C33398
	v_max3_f32 v48, v154, v155, v48                            // 00000001EF6C: D1D30030 04C3379A
	v_max3_f32 v48, v156, v157, v48                            // 00000001EF74: D1D30030 04C33B9C
	v_max3_f32 v48, v158, v159, v48                            // 00000001EF7C: D1D30030 04C33F9E
	ds_write_b32 v8, v48 offset:16896                          // 00000001EF84: D81A4200 00003008
	v_mul_f32_e32 v224, v51, v224                              // 00000001EF8C: 0BC1C133
	v_mul_f32_e32 v225, v51, v225                              // 00000001EF90: 0BC3C333
	v_mul_f32_e32 v226, v51, v226                              // 00000001EF94: 0BC5C533
	v_mul_f32_e32 v227, v51, v227                              // 00000001EF98: 0BC7C733
	v_mul_f32_e32 v228, v51, v228                              // 00000001EF9C: 0BC9C933
	v_mul_f32_e32 v229, v51, v229                              // 00000001EFA0: 0BCBCB33
	v_mul_f32_e32 v230, v51, v230                              // 00000001EFA4: 0BCDCD33
	v_mul_f32_e32 v231, v51, v231                              // 00000001EFA8: 0BCFCF33
	s_waitcnt lgkmcnt(0)                                       // 00000001EFAC: BF8CC07F
	s_barrier                                                  // 00000001EFB0: BF8A0000
	ds_read_b32 v64, v7 offset:16896                           // 00000001EFB4: D86C4200 40000007
	ds_read_b32 v65, v7 offset:16960                           // 00000001EFBC: D86C4240 41000007
	ds_read_b32 v66, v7 offset:17024                           // 00000001EFC4: D86C4280 42000007
	ds_read_b32 v67, v7 offset:17088                           // 00000001EFCC: D86C42C0 43000007
	ds_read_b32 v68, v7 offset:17152                           // 00000001EFD4: D86C4300 44000007
	ds_read_b32 v69, v7 offset:17216                           // 00000001EFDC: D86C4340 45000007
	ds_read_b32 v70, v7 offset:17280                           // 00000001EFE4: D86C4380 46000007
	ds_read_b32 v71, v7 offset:17344                           // 00000001EFEC: D86C43C0 47000007
	ds_read_b32 v72, v7 offset:17408                           // 00000001EFF4: D86C4400 48000007
	ds_read_b32 v73, v7 offset:17472                           // 00000001EFFC: D86C4440 49000007
	ds_read_b32 v74, v7 offset:17536                           // 00000001F004: D86C4480 4A000007
	ds_read_b32 v75, v7 offset:17600                           // 00000001F00C: D86C44C0 4B000007
	ds_read_b32 v76, v7 offset:17664                           // 00000001F014: D86C4500 4C000007
	ds_read_b32 v77, v7 offset:17728                           // 00000001F01C: D86C4540 4D000007
	ds_read_b32 v78, v7 offset:17792                           // 00000001F024: D86C4580 4E000007
	ds_read_b32 v79, v7 offset:17856                           // 00000001F02C: D86C45C0 4F000007
	v_mul_f32_e32 v192, v46, v192                              // 00000001F034: 0B81812E
	v_mul_f32_e32 v193, v46, v193                              // 00000001F038: 0B83832E
	v_mul_f32_e32 v194, v46, v194                              // 00000001F03C: 0B85852E
	v_mul_f32_e32 v195, v46, v195                              // 00000001F040: 0B87872E
	v_mul_f32_e32 v196, v46, v196                              // 00000001F044: 0B89892E
	v_mul_f32_e32 v197, v46, v197                              // 00000001F048: 0B8B8B2E
	v_mul_f32_e32 v198, v46, v198                              // 00000001F04C: 0B8D8D2E
	v_mul_f32_e32 v199, v46, v199                              // 00000001F050: 0B8F8F2E
	s_waitcnt lgkmcnt(0)                                       // 00000001F054: BF8CC07F
	v_max3_f32 v48, v64, v65, v48                              // 00000001F058: D1D30030 04C28340
	v_max3_f32 v48, v66, v67, v48                              // 00000001F060: D1D30030 04C28742
	v_max3_f32 v48, v68, v69, v48                              // 00000001F068: D1D30030 04C28B44
	v_max3_f32 v48, v70, v71, v48                              // 00000001F070: D1D30030 04C28F46
	v_max3_f32 v48, v72, v73, v48                              // 00000001F078: D1D30030 04C29348
	v_max3_f32 v48, v74, v75, v48                              // 00000001F080: D1D30030 04C2974A
	v_max3_f32 v48, v76, v77, v48                              // 00000001F088: D1D30030 04C29B4C
	v_max3_f32 v48, v78, v79, v48                              // 00000001F090: D1D30030 04C29F4E
	v_mov_b32_e32 v64, 0xff800000                              // 00000001F098: 7E8002FF FF800000
	v_cmp_eq_u32_e64 s[40:41], v64, v13                        // 00000001F0A0: D0CA0028 00021B40
	s_nop 1                                                    // 00000001F0A8: BF800001
	v_max_f32_e32 v15, v48, v13                                // 00000001F0AC: 161E1B30
	v_mul_f32_e32 v53, s64, v15                                // 00000001F0B0: 0A6A1E40
	v_fma_f32 v144, v144, s64, -v53                            // 00000001F0B4: D1CB0090 84D48190
	v_fma_f32 v145, v145, s64, -v53                            // 00000001F0BC: D1CB0091 84D48191
	v_fma_f32 v146, v146, s64, -v53                            // 00000001F0C4: D1CB0092 84D48192
	v_fma_f32 v147, v147, s64, -v53                            // 00000001F0CC: D1CB0093 84D48193
	v_fma_f32 v148, v148, s64, -v53                            // 00000001F0D4: D1CB0094 84D48194
	v_fma_f32 v149, v149, s64, -v53                            // 00000001F0DC: D1CB0095 84D48195
	v_fma_f32 v150, v150, s64, -v53                            // 00000001F0E4: D1CB0096 84D48196
	v_fma_f32 v151, v151, s64, -v53                            // 00000001F0EC: D1CB0097 84D48197
	v_fma_f32 v152, v152, s64, -v53                            // 00000001F0F4: D1CB0098 84D48198
	v_fma_f32 v153, v153, s64, -v53                            // 00000001F0FC: D1CB0099 84D48199
	v_fma_f32 v154, v154, s64, -v53                            // 00000001F104: D1CB009A 84D4819A
	v_fma_f32 v155, v155, s64, -v53                            // 00000001F10C: D1CB009B 84D4819B
	v_fma_f32 v156, v156, s64, -v53                            // 00000001F114: D1CB009C 84D4819C
	v_fma_f32 v157, v157, s64, -v53                            // 00000001F11C: D1CB009D 84D4819D
	v_fma_f32 v158, v158, s64, -v53                            // 00000001F124: D1CB009E 84D4819E
	v_fma_f32 v159, v159, s64, -v53                            // 00000001F12C: D1CB009F 84D4819F
	v_exp_f32_e32 v144, v144                                   // 00000001F134: 7F204190
	v_exp_f32_e32 v145, v145                                   // 00000001F138: 7F224191
	v_exp_f32_e32 v146, v146                                   // 00000001F13C: 7F244192
	v_exp_f32_e32 v147, v147                                   // 00000001F140: 7F264193
	v_exp_f32_e32 v148, v148                                   // 00000001F144: 7F284194
	v_exp_f32_e32 v149, v149                                   // 00000001F148: 7F2A4195
	v_exp_f32_e32 v150, v150                                   // 00000001F14C: 7F2C4196
	v_exp_f32_e32 v151, v151                                   // 00000001F150: 7F2E4197
	v_exp_f32_e32 v152, v152                                   // 00000001F154: 7F304198
	v_exp_f32_e32 v153, v153                                   // 00000001F158: 7F324199
	v_exp_f32_e32 v154, v154                                   // 00000001F15C: 7F34419A
	v_exp_f32_e32 v155, v155                                   // 00000001F160: 7F36419B
	v_exp_f32_e32 v156, v156                                   // 00000001F164: 7F38419C
	v_exp_f32_e32 v157, v157                                   // 00000001F168: 7F3A419D
	v_exp_f32_e32 v158, v158                                   // 00000001F16C: 7F3C419E
	v_exp_f32_e32 v159, v159                                   // 00000001F170: 7F3E419F
	v_mul_f32_dpp v240, v252, v144 quad_perm:[0,0,0,0] row_mask:0xf bank_mask:0xf// 00000001F174: 0BE120FA FF0000FC
	v_mul_f32_dpp v241, v252, v145 quad_perm:[1,1,1,1] row_mask:0xf bank_mask:0xf// 00000001F17C: 0BE322FA FF0055FC
	v_mul_f32_dpp v242, v252, v146 quad_perm:[2,2,2,2] row_mask:0xf bank_mask:0xf// 00000001F184: 0BE524FA FF00AAFC
	v_mul_f32_dpp v243, v252, v147 quad_perm:[3,3,3,3] row_mask:0xf bank_mask:0xf// 00000001F18C: 0BE726FA FF00FFFC
	v_mul_f32_dpp v244, v253, v148 quad_perm:[0,0,0,0] row_mask:0xf bank_mask:0xf// 00000001F194: 0BE928FA FF0000FD
	v_mul_f32_dpp v245, v253, v149 quad_perm:[1,1,1,1] row_mask:0xf bank_mask:0xf// 00000001F19C: 0BEB2AFA FF0055FD
	v_mul_f32_dpp v246, v253, v150 quad_perm:[2,2,2,2] row_mask:0xf bank_mask:0xf// 00000001F1A4: 0BED2CFA FF00AAFD
	v_mul_f32_dpp v247, v253, v151 quad_perm:[3,3,3,3] row_mask:0xf bank_mask:0xf// 00000001F1AC: 0BEF2EFA FF00FFFD
	v_mul_f32_dpp v248, v254, v152 quad_perm:[0,0,0,0] row_mask:0xf bank_mask:0xf// 00000001F1B4: 0BF130FA FF0000FE
	v_mul_f32_dpp v249, v254, v153 quad_perm:[1,1,1,1] row_mask:0xf bank_mask:0xf// 00000001F1BC: 0BF332FA FF0055FE
	v_mul_f32_dpp v250, v254, v154 quad_perm:[2,2,2,2] row_mask:0xf bank_mask:0xf// 00000001F1C4: 0BF534FA FF00AAFE
	v_mul_f32_dpp v251, v254, v155 quad_perm:[3,3,3,3] row_mask:0xf bank_mask:0xf// 00000001F1CC: 0BF736FA FF00FFFE
	v_mul_f32_dpp v252, v255, v156 quad_perm:[0,0,0,0] row_mask:0xf bank_mask:0xf// 00000001F1D4: 0BF938FA FF0000FF
	v_mul_f32_dpp v253, v255, v157 quad_perm:[1,1,1,1] row_mask:0xf bank_mask:0xf// 00000001F1DC: 0BFB3AFA FF0055FF
	v_mul_f32_dpp v254, v255, v158 quad_perm:[2,2,2,2] row_mask:0xf bank_mask:0xf// 00000001F1E4: 0BFD3CFA FF00AAFF
	v_mul_f32_dpp v255, v255, v159 quad_perm:[3,3,3,3] row_mask:0xf bank_mask:0xf// 00000001F1EC: 0BFF3EFA FF00FFFF
	v_mov_b32_e32 v48, 0x358637bd                              // 00000001F1F4: 7E6002FF 358637BD
	v_max3_f32 v48, |v240|, |v241|, v48                        // 00000001F1FC: D1D30330 04C3E3F0
	v_max3_f32 v48, |v242|, |v243|, v48                        // 00000001F204: D1D30330 04C3E7F2
	v_max3_f32 v48, |v244|, |v245|, v48                        // 00000001F20C: D1D30330 04C3EBF4
	v_max3_f32 v48, |v246|, |v247|, v48                        // 00000001F214: D1D30330 04C3EFF6
	v_max3_f32 v48, |v248|, |v249|, v48                        // 00000001F21C: D1D30330 04C3F3F8
	v_max3_f32 v48, |v250|, |v251|, v48                        // 00000001F224: D1D30330 04C3F7FA
	v_max3_f32 v48, |v252|, |v253|, v48                        // 00000001F22C: D1D30330 04C3FBFC
	v_max3_f32 v48, |v254|, |v255|, v48                        // 00000001F234: D1D30330 04C3FFFE
	ds_write_b32 v8, v48 offset:20992                          // 00000001F23C: D81A5200 00003008
	v_sub_f32_e32 v51, v13, v15                                // 00000001F244: 04661F0D
	v_cndmask_b32_e64 v51, v51, 0, s[40:41]                    // 00000001F248: D1000033 00A10133
	v_mov_b32_e32 v13, v15                                     // 00000001F250: 7E1A030F
	v_mul_f32_e32 v51, s64, v51                                // 00000001F254: 0A666640
	v_exp_f32_e32 v51, v51                                     // 00000001F258: 7E664133
	s_waitcnt lgkmcnt(0)                                       // 00000001F25C: BF8CC07F
	s_barrier                                                  // 00000001F260: BF8A0000
	ds_read_b32 v64, v7 offset:20992                           // 00000001F264: D86C5200 40000007
	ds_read_b32 v65, v7 offset:21056                           // 00000001F26C: D86C5240 41000007
	ds_read_b32 v66, v7 offset:21120                           // 00000001F274: D86C5280 42000007
	ds_read_b32 v67, v7 offset:21184                           // 00000001F27C: D86C52C0 43000007
	ds_read_b32 v68, v7 offset:21248                           // 00000001F284: D86C5300 44000007
	ds_read_b32 v69, v7 offset:21312                           // 00000001F28C: D86C5340 45000007
	ds_read_b32 v70, v7 offset:21376                           // 00000001F294: D86C5380 46000007
	ds_read_b32 v71, v7 offset:21440                           // 00000001F29C: D86C53C0 47000007
	ds_read_b32 v72, v7 offset:21504                           // 00000001F2A4: D86C5400 48000007
	ds_read_b32 v73, v7 offset:21568                           // 00000001F2AC: D86C5440 49000007
	ds_read_b32 v74, v7 offset:21632                           // 00000001F2B4: D86C5480 4A000007
	ds_read_b32 v75, v7 offset:21696                           // 00000001F2BC: D86C54C0 4B000007
	ds_read_b32 v76, v7 offset:21760                           // 00000001F2C4: D86C5500 4C000007
	ds_read_b32 v77, v7 offset:21824                           // 00000001F2CC: D86C5540 4D000007
	ds_read_b32 v78, v7 offset:21888                           // 00000001F2D4: D86C5580 4E000007
	ds_read_b32 v79, v7 offset:21952                           // 00000001F2DC: D86C55C0 4F000007
	v_mul_f32_e32 v40, v51, v40                                // 00000001F2E4: 0A505133
	v_mov_b32_e32 v15, v144                                    // 00000001F2E8: 7E1E0390
	v_add_f32_e32 v15, v145, v15                               // 00000001F2EC: 021E1F91
	v_add_f32_e32 v15, v146, v15                               // 00000001F2F0: 021E1F92
	v_add_f32_e32 v15, v147, v15                               // 00000001F2F4: 021E1F93
	v_add_f32_e32 v15, v148, v15                               // 00000001F2F8: 021E1F94
	v_add_f32_e32 v15, v149, v15                               // 00000001F2FC: 021E1F95
	v_add_f32_e32 v15, v150, v15                               // 00000001F300: 021E1F96
	v_add_f32_e32 v15, v151, v15                               // 00000001F304: 021E1F97
	v_add_f32_e32 v15, v152, v15                               // 00000001F308: 021E1F98
	v_add_f32_e32 v15, v153, v15                               // 00000001F30C: 021E1F99
	v_add_f32_e32 v15, v154, v15                               // 00000001F310: 021E1F9A
	v_add_f32_e32 v15, v155, v15                               // 00000001F314: 021E1F9B
	v_add_f32_e32 v15, v156, v15                               // 00000001F318: 021E1F9C
	v_add_f32_e32 v15, v157, v15                               // 00000001F31C: 021E1F9D
	v_add_f32_e32 v15, v158, v15                               // 00000001F320: 021E1F9E
	v_add_f32_e32 v15, v159, v15                               // 00000001F324: 021E1F9F
	v_add_f32_e32 v40, v15, v40                                // 00000001F328: 0250510F
	s_waitcnt lgkmcnt(0)                                       // 00000001F32C: BF8CC07F
	v_max3_f32 v48, |v64|, |v65|, v48                          // 00000001F330: D1D30330 04C28340
	v_max3_f32 v48, |v66|, |v67|, v48                          // 00000001F338: D1D30330 04C28742
	v_max3_f32 v48, |v68|, |v69|, v48                          // 00000001F340: D1D30330 04C28B44
	v_max3_f32 v48, |v70|, |v71|, v48                          // 00000001F348: D1D30330 04C28F46
	v_max3_f32 v48, |v72|, |v73|, v48                          // 00000001F350: D1D30330 04C29348
	v_max3_f32 v48, |v74|, |v75|, v48                          // 00000001F358: D1D30330 04C2974A
	v_max3_f32 v48, |v76|, |v77|, v48                          // 00000001F360: D1D30330 04C29B4C
	v_max3_f32 v48, |v78|, |v79|, v48                          // 00000001F368: D1D30330 04C29F4E
	s_nop 2                                                    // 00000001F370: BF800002
	v_rcp_f32_e32 v48, v48                                     // 00000001F374: 7E604530
	s_nop 1                                                    // 00000001F378: BF800001
	v_mul_f32_e32 v48, 0x43e00000, v48                         // 00000001F37C: 0A6060FF 43E00000
	v_mul_f32_e32 v144, v48, v240                              // 00000001F384: 0B21E130
	v_mul_f32_e32 v145, v48, v241                              // 00000001F388: 0B23E330
	v_mul_f32_e32 v146, v48, v242                              // 00000001F38C: 0B25E530
	v_mul_f32_e32 v147, v48, v243                              // 00000001F390: 0B27E730
	v_mul_f32_e32 v148, v48, v244                              // 00000001F394: 0B29E930
	v_mul_f32_e32 v149, v48, v245                              // 00000001F398: 0B2BEB30
	v_mul_f32_e32 v150, v48, v246                              // 00000001F39C: 0B2DED30
	v_mul_f32_e32 v151, v48, v247                              // 00000001F3A0: 0B2FEF30
	v_mul_f32_e32 v152, v48, v248                              // 00000001F3A4: 0B31F130
	v_mul_f32_e32 v153, v48, v249                              // 00000001F3A8: 0B33F330
	v_mul_f32_e32 v154, v48, v250                              // 00000001F3AC: 0B35F530
	v_mul_f32_e32 v155, v48, v251                              // 00000001F3B0: 0B37F730
	v_mul_f32_e32 v156, v48, v252                              // 00000001F3B4: 0B39F930
	v_mul_f32_e32 v157, v48, v253                              // 00000001F3B8: 0B3BFB30
	v_mul_f32_e32 v158, v48, v254                              // 00000001F3BC: 0B3DFD30
	v_mul_f32_e32 v159, v48, v255                              // 00000001F3C0: 0B3FFF30
	v_cvt_pk_fp8_f32 v144, v144, v145                          // 00000001F3C4: D2A20090 00032390
	v_cvt_pk_fp8_f32 v144, v146, v147 op_sel:[0,0,1]           // 00000001F3CC: D2A24090 00032792
	v_cvt_pk_fp8_f32 v145, v148, v149                          // 00000001F3D4: D2A20091 00032B94
	v_cvt_pk_fp8_f32 v145, v150, v151 op_sel:[0,0,1]           // 00000001F3DC: D2A24091 00032F96
	v_cvt_pk_fp8_f32 v146, v152, v153                          // 00000001F3E4: D2A20092 00033398
	v_cvt_pk_fp8_f32 v146, v154, v155 op_sel:[0,0,1]           // 00000001F3EC: D2A24092 0003379A
	v_cvt_pk_fp8_f32 v147, v156, v157                          // 00000001F3F4: D2A20093 00033B9C
	v_cvt_pk_fp8_f32 v147, v158, v159 op_sel:[0,0,1]           // 00000001F3FC: D2A24093 00033F9E
	ds_write_b32 v10, v144 offset:33280                        // 00000001F404: D81A8200 0000900A
	ds_write_b32 v10, v145 offset:34304                        // 00000001F40C: D81A8600 0000910A
	ds_write_b32 v10, v146 offset:35328                        // 00000001F414: D81A8A00 0000920A
	ds_write_b32 v10, v147 offset:36352                        // 00000001F41C: D81A8E00 0000930A
	v_add_f32_e32 v224, v224, v192                             // 00000001F424: 03C181E0
	v_add_f32_e32 v225, v225, v193                             // 00000001F428: 03C383E1
	v_add_f32_e32 v226, v226, v194                             // 00000001F42C: 03C585E2
	v_add_f32_e32 v227, v227, v195                             // 00000001F430: 03C787E3
	v_add_f32_e32 v228, v228, v196                             // 00000001F434: 03C989E4
	v_add_f32_e32 v229, v229, v197                             // 00000001F438: 03CB8BE5
	v_add_f32_e32 v230, v230, v198                             // 00000001F43C: 03CD8DE6
	v_add_f32_e32 v231, v231, v199                             // 00000001F440: 03CF8FE7
	v_rcp_f32_e32 v46, v48                                     // 00000001F444: 7E5C4530
	s_waitcnt lgkmcnt(0)                                       // 00000001F448: BF8CC07F
	s_barrier                                                  // 00000001F44C: BF8A0000
	ds_read_b64 v[144:145], v9 offset:33280                    // 00000001F450: D8EC8200 90000009
	ds_read_b64 v[146:147], v9 offset:33408                    // 00000001F458: D8EC8280 92000009
	ds_read_b64 v[148:149], v9 offset:34304                    // 00000001F460: D8EC8600 94000009
	ds_read_b64 v[150:151], v9 offset:34432                    // 00000001F468: D8EC8680 96000009
	ds_read_b64 v[152:153], v9 offset:35328                    // 00000001F470: D8EC8A00 98000009
	ds_read_b64 v[154:155], v9 offset:35456                    // 00000001F478: D8EC8A80 9A000009
	ds_read_b64 v[156:157], v9 offset:36352                    // 00000001F480: D8EC8E00 9C000009
	ds_read_b64 v[158:159], v9 offset:36480                    // 00000001F488: D8EC8E80 9E000009
	v_mov_b32_dpp v64, v42 row_shr:4 row_mask:0xf bank_mask:0xf// 00000001F490: 7E8002FA FF01142A
	v_mov_b32_dpp v65, v42 row_shl:4 row_mask:0xf bank_mask:0xf// 00000001F498: 7E8202FA FF01042A
	v_cndmask_b32_e64 v248, v42, v64, s[44:45]                 // 00000001F4A0: D10000F8 00B2812A
	v_cndmask_b32_e64 v249, v65, v42, s[44:45]                 // 00000001F4A8: D10000F9 00B25541
	v_mov_b32_dpp v64, v248 row_shr:8 row_mask:0xf bank_mask:0xf// 00000001F4B0: 7E8002FA FF0118F8
	v_mov_b32_dpp v65, v248 row_shl:8 row_mask:0xf bank_mask:0xf// 00000001F4B8: 7E8202FA FF0108F8
	v_mov_b32_dpp v66, v249 row_shr:8 row_mask:0xf bank_mask:0xf// 00000001F4C0: 7E8402FA FF0118F9
	v_mov_b32_dpp v67, v249 row_shl:8 row_mask:0xf bank_mask:0xf// 00000001F4C8: 7E8602FA FF0108F9
	v_mov_b32_e32 v68, v248                                    // 00000001F4D0: 7E8803F8
	v_mov_b32_e32 v69, v249                                    // 00000001F4D4: 7E8A03F9
	v_cndmask_b32_e64 v248, v68, v64, s[42:43]                 // 00000001F4D8: D10000F8 00AA8144
	v_cndmask_b32_e64 v250, v68, v65, s[78:79]                 // 00000001F4E0: D10000FA 013A8344
	v_cndmask_b32_e64 v249, v69, v66, s[42:43]                 // 00000001F4E8: D10000F9 00AA8545
	v_cndmask_b32_e64 v251, v69, v67, s[78:79]                 // 00000001F4F0: D10000FB 013A8745
	v_mov_b32_dpp v64, v57 row_shr:4 row_mask:0xf bank_mask:0xf// 00000001F4F8: 7E8002FA FF011439
	v_mov_b32_dpp v65, v57 row_shl:4 row_mask:0xf bank_mask:0xf// 00000001F500: 7E8202FA FF010439
	v_cndmask_b32_e64 v252, v57, v64, s[44:45]                 // 00000001F508: D10000FC 00B28139
	v_cndmask_b32_e64 v253, v65, v57, s[44:45]                 // 00000001F510: D10000FD 00B27341
	v_mov_b32_dpp v64, v252 row_shr:8 row_mask:0xf bank_mask:0xf// 00000001F518: 7E8002FA FF0118FC
	v_mov_b32_dpp v65, v252 row_shl:8 row_mask:0xf bank_mask:0xf// 00000001F520: 7E8202FA FF0108FC
	v_mov_b32_dpp v66, v253 row_shr:8 row_mask:0xf bank_mask:0xf// 00000001F528: 7E8402FA FF0118FD
	v_mov_b32_dpp v67, v253 row_shl:8 row_mask:0xf bank_mask:0xf// 00000001F530: 7E8602FA FF0108FD
	v_mov_b32_e32 v68, v252                                    // 00000001F538: 7E8803FC
	v_mov_b32_e32 v69, v253                                    // 00000001F53C: 7E8A03FD
	v_cndmask_b32_e64 v252, v68, v64, s[42:43]                 // 00000001F540: D10000FC 00AA8144
	v_cndmask_b32_e64 v254, v68, v65, s[78:79]                 // 00000001F548: D10000FE 013A8344
	v_cndmask_b32_e64 v253, v69, v66, s[42:43]                 // 00000001F550: D10000FD 00AA8545
	v_cndmask_b32_e64 v255, v69, v67, s[78:79]                 // 00000001F558: D10000FF 013A8745
	v_mul_f32_e32 v160, v21, v160                              // 00000001F560: 0B414115
	v_mul_f32_e32 v161, v21, v161                              // 00000001F564: 0B434315
	v_mul_f32_e32 v162, v21, v162                              // 00000001F568: 0B454515
	v_mul_f32_e32 v163, v21, v163                              // 00000001F56C: 0B474715
	v_mul_f32_e32 v164, v21, v164                              // 00000001F570: 0B494915
	v_mul_f32_e32 v165, v21, v165                              // 00000001F574: 0B4B4B15
	v_mul_f32_e32 v166, v21, v166                              // 00000001F578: 0B4D4D15
	v_mul_f32_e32 v167, v21, v167                              // 00000001F57C: 0B4F4F15
	v_mul_f32_e32 v168, v21, v168                              // 00000001F580: 0B515115
	v_mul_f32_e32 v169, v21, v169                              // 00000001F584: 0B535315
	v_mul_f32_e32 v170, v21, v170                              // 00000001F588: 0B555515
	v_mul_f32_e32 v171, v21, v171                              // 00000001F58C: 0B575715
	v_mul_f32_e32 v172, v21, v172                              // 00000001F590: 0B595915
	v_mul_f32_e32 v173, v21, v173                              // 00000001F594: 0B5B5B15
	v_mul_f32_e32 v174, v21, v174                              // 00000001F598: 0B5D5D15
	v_mul_f32_e32 v175, v21, v175                              // 00000001F59C: 0B5F5F15
	v_mul_f32_dpp v160, v248, v160 quad_perm:[0,0,0,0] row_mask:0xf bank_mask:0xf// 00000001F5A0: 0B4140FA FF0000F8
	v_mul_f32_dpp v161, v248, v161 quad_perm:[1,1,1,1] row_mask:0xf bank_mask:0xf// 00000001F5A8: 0B4342FA FF0055F8
	v_mul_f32_dpp v162, v248, v162 quad_perm:[2,2,2,2] row_mask:0xf bank_mask:0xf// 00000001F5B0: 0B4544FA FF00AAF8
	v_mul_f32_dpp v163, v248, v163 quad_perm:[3,3,3,3] row_mask:0xf bank_mask:0xf// 00000001F5B8: 0B4746FA FF00FFF8
	v_mul_f32_dpp v164, v249, v164 quad_perm:[0,0,0,0] row_mask:0xf bank_mask:0xf// 00000001F5C0: 0B4948FA FF0000F9
	v_mul_f32_dpp v165, v249, v165 quad_perm:[1,1,1,1] row_mask:0xf bank_mask:0xf// 00000001F5C8: 0B4B4AFA FF0055F9
	v_mul_f32_dpp v166, v249, v166 quad_perm:[2,2,2,2] row_mask:0xf bank_mask:0xf// 00000001F5D0: 0B4D4CFA FF00AAF9
	v_mul_f32_dpp v167, v249, v167 quad_perm:[3,3,3,3] row_mask:0xf bank_mask:0xf// 00000001F5D8: 0B4F4EFA FF00FFF9
	v_mul_f32_dpp v168, v250, v168 quad_perm:[0,0,0,0] row_mask:0xf bank_mask:0xf// 00000001F5E0: 0B5150FA FF0000FA
	v_mul_f32_dpp v169, v250, v169 quad_perm:[1,1,1,1] row_mask:0xf bank_mask:0xf// 00000001F5E8: 0B5352FA FF0055FA
	v_mul_f32_dpp v170, v250, v170 quad_perm:[2,2,2,2] row_mask:0xf bank_mask:0xf// 00000001F5F0: 0B5554FA FF00AAFA
	v_mul_f32_dpp v171, v250, v171 quad_perm:[3,3,3,3] row_mask:0xf bank_mask:0xf// 00000001F5F8: 0B5756FA FF00FFFA
	v_mul_f32_dpp v172, v251, v172 quad_perm:[0,0,0,0] row_mask:0xf bank_mask:0xf// 00000001F600: 0B5958FA FF0000FB
	v_mul_f32_dpp v173, v251, v173 quad_perm:[1,1,1,1] row_mask:0xf bank_mask:0xf// 00000001F608: 0B5B5AFA FF0055FB
	v_mul_f32_dpp v174, v251, v174 quad_perm:[2,2,2,2] row_mask:0xf bank_mask:0xf// 00000001F610: 0B5D5CFA FF00AAFB
	v_mul_f32_dpp v175, v251, v175 quad_perm:[3,3,3,3] row_mask:0xf bank_mask:0xf// 00000001F618: 0B5F5EFA FF00FFFB
	v_mov_b32_e32 v48, v160                                    // 00000001F620: 7E6003A0
	v_max3_f32 v48, v160, v161, v48                            // 00000001F624: D1D30030 04C343A0
	v_max3_f32 v48, v162, v163, v48                            // 00000001F62C: D1D30030 04C347A2
	v_max3_f32 v48, v164, v165, v48                            // 00000001F634: D1D30030 04C34BA4
	v_max3_f32 v48, v166, v167, v48                            // 00000001F63C: D1D30030 04C34FA6
	v_max3_f32 v48, v168, v169, v48                            // 00000001F644: D1D30030 04C353A8
	v_max3_f32 v48, v170, v171, v48                            // 00000001F64C: D1D30030 04C357AA
	v_max3_f32 v48, v172, v173, v48                            // 00000001F654: D1D30030 04C35BAC
	v_max3_f32 v48, v174, v175, v48                            // 00000001F65C: D1D30030 04C35FAE
	ds_write_b32 v8, v48 offset:16896                          // 00000001F664: D81A4200 00003008
	v_mul_f32_e32 v232, v52, v232                              // 00000001F66C: 0BD1D134
	v_mul_f32_e32 v233, v52, v233                              // 00000001F670: 0BD3D334
	v_mul_f32_e32 v234, v52, v234                              // 00000001F674: 0BD5D534
	v_mul_f32_e32 v235, v52, v235                              // 00000001F678: 0BD7D734
	v_mul_f32_e32 v236, v52, v236                              // 00000001F67C: 0BD9D934
	v_mul_f32_e32 v237, v52, v237                              // 00000001F680: 0BDBDB34
	v_mul_f32_e32 v238, v52, v238                              // 00000001F684: 0BDDDD34
	v_mul_f32_e32 v239, v52, v239                              // 00000001F688: 0BDFDF34
	s_waitcnt lgkmcnt(0)                                       // 00000001F68C: BF8CC07F
	s_barrier                                                  // 00000001F690: BF8A0000
	ds_read_b32 v64, v7 offset:16896                           // 00000001F694: D86C4200 40000007
	ds_read_b32 v65, v7 offset:16960                           // 00000001F69C: D86C4240 41000007
	ds_read_b32 v66, v7 offset:17024                           // 00000001F6A4: D86C4280 42000007
	ds_read_b32 v67, v7 offset:17088                           // 00000001F6AC: D86C42C0 43000007
	ds_read_b32 v68, v7 offset:17152                           // 00000001F6B4: D86C4300 44000007
	ds_read_b32 v69, v7 offset:17216                           // 00000001F6BC: D86C4340 45000007
	ds_read_b32 v70, v7 offset:17280                           // 00000001F6C4: D86C4380 46000007
	ds_read_b32 v71, v7 offset:17344                           // 00000001F6CC: D86C43C0 47000007
	ds_read_b32 v72, v7 offset:17408                           // 00000001F6D4: D86C4400 48000007
	ds_read_b32 v73, v7 offset:17472                           // 00000001F6DC: D86C4440 49000007
	ds_read_b32 v74, v7 offset:17536                           // 00000001F6E4: D86C4480 4A000007
	ds_read_b32 v75, v7 offset:17600                           // 00000001F6EC: D86C44C0 4B000007
	ds_read_b32 v76, v7 offset:17664                           // 00000001F6F4: D86C4500 4C000007
	ds_read_b32 v77, v7 offset:17728                           // 00000001F6FC: D86C4540 4D000007
	ds_read_b32 v78, v7 offset:17792                           // 00000001F704: D86C4580 4E000007
	ds_read_b32 v79, v7 offset:17856                           // 00000001F70C: D86C45C0 4F000007
	v_mul_f32_e32 v200, v47, v200                              // 00000001F714: 0B91912F
	v_mul_f32_e32 v201, v47, v201                              // 00000001F718: 0B93932F
	v_mul_f32_e32 v202, v47, v202                              // 00000001F71C: 0B95952F
	v_mul_f32_e32 v203, v47, v203                              // 00000001F720: 0B97972F
	v_mul_f32_e32 v204, v47, v204                              // 00000001F724: 0B99992F
	v_mul_f32_e32 v205, v47, v205                              // 00000001F728: 0B9B9B2F
	v_mul_f32_e32 v206, v47, v206                              // 00000001F72C: 0B9D9D2F
	v_mul_f32_e32 v207, v47, v207                              // 00000001F730: 0B9F9F2F
	s_waitcnt lgkmcnt(0)                                       // 00000001F734: BF8CC07F
	v_max3_f32 v48, v64, v65, v48                              // 00000001F738: D1D30030 04C28340
	v_max3_f32 v48, v66, v67, v48                              // 00000001F740: D1D30030 04C28742
	v_max3_f32 v48, v68, v69, v48                              // 00000001F748: D1D30030 04C28B44
	v_max3_f32 v48, v70, v71, v48                              // 00000001F750: D1D30030 04C28F46
	v_max3_f32 v48, v72, v73, v48                              // 00000001F758: D1D30030 04C29348
	v_max3_f32 v48, v74, v75, v48                              // 00000001F760: D1D30030 04C2974A
	v_max3_f32 v48, v76, v77, v48                              // 00000001F768: D1D30030 04C29B4C
	v_max3_f32 v48, v78, v79, v48                              // 00000001F770: D1D30030 04C29F4E
	v_mov_b32_e32 v64, 0xff800000                              // 00000001F778: 7E8002FF FF800000
	v_cmp_eq_u32_e64 s[40:41], v64, v14                        // 00000001F780: D0CA0028 00021D40
	s_nop 1                                                    // 00000001F788: BF800001
	v_max_f32_e32 v15, v48, v14                                // 00000001F78C: 161E1D30
	v_mul_f32_e32 v53, s64, v15                                // 00000001F790: 0A6A1E40
	v_fma_f32 v160, v160, s64, -v53                            // 00000001F794: D1CB00A0 84D481A0
	v_fma_f32 v161, v161, s64, -v53                            // 00000001F79C: D1CB00A1 84D481A1
	v_fma_f32 v162, v162, s64, -v53                            // 00000001F7A4: D1CB00A2 84D481A2
	v_fma_f32 v163, v163, s64, -v53                            // 00000001F7AC: D1CB00A3 84D481A3
	v_fma_f32 v164, v164, s64, -v53                            // 00000001F7B4: D1CB00A4 84D481A4
	v_fma_f32 v165, v165, s64, -v53                            // 00000001F7BC: D1CB00A5 84D481A5
	v_fma_f32 v166, v166, s64, -v53                            // 00000001F7C4: D1CB00A6 84D481A6
	v_fma_f32 v167, v167, s64, -v53                            // 00000001F7CC: D1CB00A7 84D481A7
	v_fma_f32 v168, v168, s64, -v53                            // 00000001F7D4: D1CB00A8 84D481A8
	v_fma_f32 v169, v169, s64, -v53                            // 00000001F7DC: D1CB00A9 84D481A9
	v_fma_f32 v170, v170, s64, -v53                            // 00000001F7E4: D1CB00AA 84D481AA
	v_fma_f32 v171, v171, s64, -v53                            // 00000001F7EC: D1CB00AB 84D481AB
	v_fma_f32 v172, v172, s64, -v53                            // 00000001F7F4: D1CB00AC 84D481AC
	v_fma_f32 v173, v173, s64, -v53                            // 00000001F7FC: D1CB00AD 84D481AD
	v_fma_f32 v174, v174, s64, -v53                            // 00000001F804: D1CB00AE 84D481AE
	v_fma_f32 v175, v175, s64, -v53                            // 00000001F80C: D1CB00AF 84D481AF
	v_exp_f32_e32 v160, v160                                   // 00000001F814: 7F4041A0
	v_exp_f32_e32 v161, v161                                   // 00000001F818: 7F4241A1
	v_exp_f32_e32 v162, v162                                   // 00000001F81C: 7F4441A2
	v_exp_f32_e32 v163, v163                                   // 00000001F820: 7F4641A3
	v_exp_f32_e32 v164, v164                                   // 00000001F824: 7F4841A4
	v_exp_f32_e32 v165, v165                                   // 00000001F828: 7F4A41A5
	v_exp_f32_e32 v166, v166                                   // 00000001F82C: 7F4C41A6
	v_exp_f32_e32 v167, v167                                   // 00000001F830: 7F4E41A7
	v_exp_f32_e32 v168, v168                                   // 00000001F834: 7F5041A8
	v_exp_f32_e32 v169, v169                                   // 00000001F838: 7F5241A9
	v_exp_f32_e32 v170, v170                                   // 00000001F83C: 7F5441AA
	v_exp_f32_e32 v171, v171                                   // 00000001F840: 7F5641AB
	v_exp_f32_e32 v172, v172                                   // 00000001F844: 7F5841AC
	v_exp_f32_e32 v173, v173                                   // 00000001F848: 7F5A41AD
	v_exp_f32_e32 v174, v174                                   // 00000001F84C: 7F5C41AE
	v_exp_f32_e32 v175, v175                                   // 00000001F850: 7F5E41AF
	v_mul_f32_dpp v240, v252, v160 quad_perm:[0,0,0,0] row_mask:0xf bank_mask:0xf// 00000001F854: 0BE140FA FF0000FC
	v_mul_f32_dpp v241, v252, v161 quad_perm:[1,1,1,1] row_mask:0xf bank_mask:0xf// 00000001F85C: 0BE342FA FF0055FC
	v_mul_f32_dpp v242, v252, v162 quad_perm:[2,2,2,2] row_mask:0xf bank_mask:0xf// 00000001F864: 0BE544FA FF00AAFC
	v_mul_f32_dpp v243, v252, v163 quad_perm:[3,3,3,3] row_mask:0xf bank_mask:0xf// 00000001F86C: 0BE746FA FF00FFFC
	v_mul_f32_dpp v244, v253, v164 quad_perm:[0,0,0,0] row_mask:0xf bank_mask:0xf// 00000001F874: 0BE948FA FF0000FD
	v_mul_f32_dpp v245, v253, v165 quad_perm:[1,1,1,1] row_mask:0xf bank_mask:0xf// 00000001F87C: 0BEB4AFA FF0055FD
	v_mul_f32_dpp v246, v253, v166 quad_perm:[2,2,2,2] row_mask:0xf bank_mask:0xf// 00000001F884: 0BED4CFA FF00AAFD
	v_mul_f32_dpp v247, v253, v167 quad_perm:[3,3,3,3] row_mask:0xf bank_mask:0xf// 00000001F88C: 0BEF4EFA FF00FFFD
	v_mul_f32_dpp v248, v254, v168 quad_perm:[0,0,0,0] row_mask:0xf bank_mask:0xf// 00000001F894: 0BF150FA FF0000FE
	v_mul_f32_dpp v249, v254, v169 quad_perm:[1,1,1,1] row_mask:0xf bank_mask:0xf// 00000001F89C: 0BF352FA FF0055FE
	v_mul_f32_dpp v250, v254, v170 quad_perm:[2,2,2,2] row_mask:0xf bank_mask:0xf// 00000001F8A4: 0BF554FA FF00AAFE
	v_mul_f32_dpp v251, v254, v171 quad_perm:[3,3,3,3] row_mask:0xf bank_mask:0xf// 00000001F8AC: 0BF756FA FF00FFFE
	v_mul_f32_dpp v252, v255, v172 quad_perm:[0,0,0,0] row_mask:0xf bank_mask:0xf// 00000001F8B4: 0BF958FA FF0000FF
	v_mul_f32_dpp v253, v255, v173 quad_perm:[1,1,1,1] row_mask:0xf bank_mask:0xf// 00000001F8BC: 0BFB5AFA FF0055FF
	v_mul_f32_dpp v254, v255, v174 quad_perm:[2,2,2,2] row_mask:0xf bank_mask:0xf// 00000001F8C4: 0BFD5CFA FF00AAFF
	v_mul_f32_dpp v255, v255, v175 quad_perm:[3,3,3,3] row_mask:0xf bank_mask:0xf// 00000001F8CC: 0BFF5EFA FF00FFFF
	v_mov_b32_e32 v48, 0x358637bd                              // 00000001F8D4: 7E6002FF 358637BD
	v_max3_f32 v48, |v240|, |v241|, v48                        // 00000001F8DC: D1D30330 04C3E3F0
	v_max3_f32 v48, |v242|, |v243|, v48                        // 00000001F8E4: D1D30330 04C3E7F2
	v_max3_f32 v48, |v244|, |v245|, v48                        // 00000001F8EC: D1D30330 04C3EBF4
	v_max3_f32 v48, |v246|, |v247|, v48                        // 00000001F8F4: D1D30330 04C3EFF6
	v_max3_f32 v48, |v248|, |v249|, v48                        // 00000001F8FC: D1D30330 04C3F3F8
	v_max3_f32 v48, |v250|, |v251|, v48                        // 00000001F904: D1D30330 04C3F7FA
	v_max3_f32 v48, |v252|, |v253|, v48                        // 00000001F90C: D1D30330 04C3FBFC
	v_max3_f32 v48, |v254|, |v255|, v48                        // 00000001F914: D1D30330 04C3FFFE
	ds_write_b32 v8, v48 offset:20992                          // 00000001F91C: D81A5200 00003008
	v_sub_f32_e32 v52, v14, v15                                // 00000001F924: 04681F0E
	v_cndmask_b32_e64 v52, v52, 0, s[40:41]                    // 00000001F928: D1000034 00A10134
	v_mov_b32_e32 v14, v15                                     // 00000001F930: 7E1C030F
	v_mul_f32_e32 v52, s64, v52                                // 00000001F934: 0A686840
	v_exp_f32_e32 v52, v52                                     // 00000001F938: 7E684134
	s_waitcnt lgkmcnt(0)                                       // 00000001F93C: BF8CC07F
	s_barrier                                                  // 00000001F940: BF8A0000
	ds_read_b32 v64, v7 offset:20992                           // 00000001F944: D86C5200 40000007
	ds_read_b32 v65, v7 offset:21056                           // 00000001F94C: D86C5240 41000007
	ds_read_b32 v66, v7 offset:21120                           // 00000001F954: D86C5280 42000007
	ds_read_b32 v67, v7 offset:21184                           // 00000001F95C: D86C52C0 43000007
	ds_read_b32 v68, v7 offset:21248                           // 00000001F964: D86C5300 44000007
	ds_read_b32 v69, v7 offset:21312                           // 00000001F96C: D86C5340 45000007
	ds_read_b32 v70, v7 offset:21376                           // 00000001F974: D86C5380 46000007
	ds_read_b32 v71, v7 offset:21440                           // 00000001F97C: D86C53C0 47000007
	ds_read_b32 v72, v7 offset:21504                           // 00000001F984: D86C5400 48000007
	ds_read_b32 v73, v7 offset:21568                           // 00000001F98C: D86C5440 49000007
	ds_read_b32 v74, v7 offset:21632                           // 00000001F994: D86C5480 4A000007
	ds_read_b32 v75, v7 offset:21696                           // 00000001F99C: D86C54C0 4B000007
	ds_read_b32 v76, v7 offset:21760                           // 00000001F9A4: D86C5500 4C000007
	ds_read_b32 v77, v7 offset:21824                           // 00000001F9AC: D86C5540 4D000007
	ds_read_b32 v78, v7 offset:21888                           // 00000001F9B4: D86C5580 4E000007
	ds_read_b32 v79, v7 offset:21952                           // 00000001F9BC: D86C55C0 4F000007
	v_mul_f32_e32 v41, v52, v41                                // 00000001F9C4: 0A525334
	v_mov_b32_e32 v15, v160                                    // 00000001F9C8: 7E1E03A0
	v_add_f32_e32 v15, v161, v15                               // 00000001F9CC: 021E1FA1
	v_add_f32_e32 v15, v162, v15                               // 00000001F9D0: 021E1FA2
	v_add_f32_e32 v15, v163, v15                               // 00000001F9D4: 021E1FA3
	v_add_f32_e32 v15, v164, v15                               // 00000001F9D8: 021E1FA4
	v_add_f32_e32 v15, v165, v15                               // 00000001F9DC: 021E1FA5
	v_add_f32_e32 v15, v166, v15                               // 00000001F9E0: 021E1FA6
	v_add_f32_e32 v15, v167, v15                               // 00000001F9E4: 021E1FA7
	v_add_f32_e32 v15, v168, v15                               // 00000001F9E8: 021E1FA8
	v_add_f32_e32 v15, v169, v15                               // 00000001F9EC: 021E1FA9
	v_add_f32_e32 v15, v170, v15                               // 00000001F9F0: 021E1FAA
	v_add_f32_e32 v15, v171, v15                               // 00000001F9F4: 021E1FAB
	v_add_f32_e32 v15, v172, v15                               // 00000001F9F8: 021E1FAC
	v_add_f32_e32 v15, v173, v15                               // 00000001F9FC: 021E1FAD
	v_add_f32_e32 v15, v174, v15                               // 00000001FA00: 021E1FAE
	v_add_f32_e32 v15, v175, v15                               // 00000001FA04: 021E1FAF
	v_add_f32_e32 v41, v15, v41                                // 00000001FA08: 0252530F
	s_waitcnt lgkmcnt(0)                                       // 00000001FA0C: BF8CC07F
	v_max3_f32 v48, |v64|, |v65|, v48                          // 00000001FA10: D1D30330 04C28340
	v_max3_f32 v48, |v66|, |v67|, v48                          // 00000001FA18: D1D30330 04C28742
	v_max3_f32 v48, |v68|, |v69|, v48                          // 00000001FA20: D1D30330 04C28B44
	v_max3_f32 v48, |v70|, |v71|, v48                          // 00000001FA28: D1D30330 04C28F46
	v_max3_f32 v48, |v72|, |v73|, v48                          // 00000001FA30: D1D30330 04C29348
	v_max3_f32 v48, |v74|, |v75|, v48                          // 00000001FA38: D1D30330 04C2974A
	v_max3_f32 v48, |v76|, |v77|, v48                          // 00000001FA40: D1D30330 04C29B4C
	v_max3_f32 v48, |v78|, |v79|, v48                          // 00000001FA48: D1D30330 04C29F4E
	s_nop 2                                                    // 00000001FA50: BF800002
	v_rcp_f32_e32 v48, v48                                     // 00000001FA54: 7E604530
	s_nop 1                                                    // 00000001FA58: BF800001
	v_mul_f32_e32 v48, 0x43e00000, v48                         // 00000001FA5C: 0A6060FF 43E00000
	v_mul_f32_e32 v160, v48, v240                              // 00000001FA64: 0B41E130
	v_mul_f32_e32 v161, v48, v241                              // 00000001FA68: 0B43E330
	v_mul_f32_e32 v162, v48, v242                              // 00000001FA6C: 0B45E530
	v_mul_f32_e32 v163, v48, v243                              // 00000001FA70: 0B47E730
	v_mul_f32_e32 v164, v48, v244                              // 00000001FA74: 0B49E930
	v_mul_f32_e32 v165, v48, v245                              // 00000001FA78: 0B4BEB30
	v_mul_f32_e32 v166, v48, v246                              // 00000001FA7C: 0B4DED30
	v_mul_f32_e32 v167, v48, v247                              // 00000001FA80: 0B4FEF30
	v_mul_f32_e32 v168, v48, v248                              // 00000001FA84: 0B51F130
	v_mul_f32_e32 v169, v48, v249                              // 00000001FA88: 0B53F330
	v_mul_f32_e32 v170, v48, v250                              // 00000001FA8C: 0B55F530
	v_mul_f32_e32 v171, v48, v251                              // 00000001FA90: 0B57F730
	v_mul_f32_e32 v172, v48, v252                              // 00000001FA94: 0B59F930
	v_mul_f32_e32 v173, v48, v253                              // 00000001FA98: 0B5BFB30
	v_mul_f32_e32 v174, v48, v254                              // 00000001FA9C: 0B5DFD30
	v_mul_f32_e32 v175, v48, v255                              // 00000001FAA0: 0B5FFF30
	v_cvt_pk_fp8_f32 v160, v160, v161                          // 00000001FAA4: D2A200A0 000343A0
	v_cvt_pk_fp8_f32 v160, v162, v163 op_sel:[0,0,1]           // 00000001FAAC: D2A240A0 000347A2
	v_cvt_pk_fp8_f32 v161, v164, v165                          // 00000001FAB4: D2A200A1 00034BA4
	v_cvt_pk_fp8_f32 v161, v166, v167 op_sel:[0,0,1]           // 00000001FABC: D2A240A1 00034FA6
	v_cvt_pk_fp8_f32 v162, v168, v169                          // 00000001FAC4: D2A200A2 000353A8
	v_cvt_pk_fp8_f32 v162, v170, v171 op_sel:[0,0,1]           // 00000001FACC: D2A240A2 000357AA
	v_cvt_pk_fp8_f32 v163, v172, v173                          // 00000001FAD4: D2A200A3 00035BAC
	v_cvt_pk_fp8_f32 v163, v174, v175 op_sel:[0,0,1]           // 00000001FADC: D2A240A3 00035FAE
	ds_write_b32 v10, v160 offset:37376                        // 00000001FAE4: D81A9200 0000A00A
	ds_write_b32 v10, v161 offset:38400                        // 00000001FAEC: D81A9600 0000A10A
	ds_write_b32 v10, v162 offset:39424                        // 00000001FAF4: D81A9A00 0000A20A
	ds_write_b32 v10, v163 offset:40448                        // 00000001FAFC: D81A9E00 0000A30A
	v_add_f32_e32 v232, v232, v200                             // 00000001FB04: 03D191E8
	v_add_f32_e32 v233, v233, v201                             // 00000001FB08: 03D393E9
	v_add_f32_e32 v234, v234, v202                             // 00000001FB0C: 03D595EA
	v_add_f32_e32 v235, v235, v203                             // 00000001FB10: 03D797EB
	v_add_f32_e32 v236, v236, v204                             // 00000001FB14: 03D999EC
	v_add_f32_e32 v237, v237, v205                             // 00000001FB18: 03DB9BED
	v_add_f32_e32 v238, v238, v206                             // 00000001FB1C: 03DD9DEE
	v_add_f32_e32 v239, v239, v207                             // 00000001FB20: 03DF9FEF
	v_rcp_f32_e32 v47, v48                                     // 00000001FB24: 7E5E4530
	s_waitcnt lgkmcnt(0)                                       // 00000001FB28: BF8CC07F
	s_barrier                                                  // 00000001FB2C: BF8A0000
	ds_read_b64 v[160:161], v9 offset:37376                    // 00000001FB30: D8EC9200 A0000009
	ds_read_b64 v[162:163], v9 offset:37504                    // 00000001FB38: D8EC9280 A2000009
	ds_read_b64 v[164:165], v9 offset:38400                    // 00000001FB40: D8EC9600 A4000009
	ds_read_b64 v[166:167], v9 offset:38528                    // 00000001FB48: D8EC9680 A6000009
	ds_read_b64 v[168:169], v9 offset:39424                    // 00000001FB50: D8EC9A00 A8000009
	ds_read_b64 v[170:171], v9 offset:39552                    // 00000001FB58: D8EC9A80 AA000009
	ds_read_b64 v[172:173], v9 offset:40448                    // 00000001FB60: D8EC9E00 AC000009
	ds_read_b64 v[174:175], v9 offset:40576                    // 00000001FB68: D8EC9E80 AE000009
	s_waitcnt vmcnt(15)                                        // 00000001FB70: BF8C0F7F
	v_mfma_f32_16x16x32_fp8_fp8 v[176:179], a[64:65], v[112:113], 0// 00000001FB74: D3F300B0 0A02E140
	buffer_load_dwordx4 a[112:115], v34, s[20:23], 0 offen offset:1024// 00000001FB7C: E05C1400 80857022
	v_mfma_f32_16x16x32_fp8_fp8 v[176:179], a[66:67], v[114:115], v[176:179]// 00000001FB84: D3F300B0 0EC2E542
	v_mfma_f32_16x16x32_fp8_fp8 v[176:179], a[68:69], v[116:117], v[176:179]// 00000001FB8C: D3F300B0 0EC2E944
	v_mfma_f32_16x16x32_fp8_fp8 v[176:179], a[70:71], v[118:119], v[176:179]// 00000001FB94: D3F300B0 0EC2ED46
	v_mfma_f32_16x16x32_fp8_fp8 v[176:179], a[72:73], v[120:121], v[176:179]// 00000001FB9C: D3F300B0 0EC2F148
	buffer_load_dwordx4 a[116:119], v35, s[20:23], 0 offen offset:1024// 00000001FBA4: E05C1400 80857423
	v_mfma_f32_16x16x32_fp8_fp8 v[176:179], a[74:75], v[122:123], v[176:179]// 00000001FBAC: D3F300B0 0EC2F54A
	v_mfma_f32_16x16x32_fp8_fp8 v[176:179], a[76:77], v[124:125], v[176:179]// 00000001FBB4: D3F300B0 0EC2F94C
	v_mfma_f32_16x16x32_fp8_fp8 v[176:179], a[78:79], v[126:127], v[176:179]// 00000001FBBC: D3F300B0 0EC2FD4E
	v_mfma_f32_16x16x32_fp8_fp8 v[180:183], a[80:81], v[112:113], 0// 00000001FBC4: D3F300B4 0A02E150
	buffer_load_dwordx4 a[120:123], v36, s[20:23], 0 offen offset:1024// 00000001FBCC: E05C1400 80857824
	v_mfma_f32_16x16x32_fp8_fp8 v[180:183], a[82:83], v[114:115], v[180:183]// 00000001FBD4: D3F300B4 0ED2E552
	v_mfma_f32_16x16x32_fp8_fp8 v[180:183], a[84:85], v[116:117], v[180:183]// 00000001FBDC: D3F300B4 0ED2E954
	v_mfma_f32_16x16x32_fp8_fp8 v[180:183], a[86:87], v[118:119], v[180:183]// 00000001FBE4: D3F300B4 0ED2ED56
	v_mfma_f32_16x16x32_fp8_fp8 v[180:183], a[88:89], v[120:121], v[180:183]// 00000001FBEC: D3F300B4 0ED2F158
	buffer_load_dwordx4 a[124:127], v37, s[20:23], 0 offen offset:1024// 00000001FBF4: E05C1400 80857C25
	v_mfma_f32_16x16x32_fp8_fp8 v[180:183], a[90:91], v[122:123], v[180:183]// 00000001FBFC: D3F300B4 0ED2F55A
	v_mfma_f32_16x16x32_fp8_fp8 v[180:183], a[92:93], v[124:125], v[180:183]// 00000001FC04: D3F300B4 0ED2F95C
	s_lshr_b32 s57, s70, 4                                     // 00000001FC0C: 8F398446
	s_add_u32 s57, 48, s57                                     // 00000001FC10: 803939B0
	v_mfma_f32_16x16x32_fp8_fp8 v[180:183], a[94:95], v[126:127], v[180:183]// 00000001FC14: D3F300B4 0ED2FD5E
	s_cmp_ge_u32 s57, s73                                      // 00000001FC1C: BF094939
	s_cselect_b32 s56, 0, s56                                  // 00000001FC20: 85383880
	v_mfma_f32_16x16x32_fp8_fp8 v[184:187], a[64:65], v[128:129], 0// 00000001FC24: D3F300B8 0A030140
	v_mfma_f32_16x16x32_fp8_fp8 v[184:187], a[66:67], v[130:131], v[184:187]// 00000001FC2C: D3F300B8 0EE30542
	v_mfma_f32_16x16x32_fp8_fp8 v[184:187], a[68:69], v[132:133], v[184:187]// 00000001FC34: D3F300B8 0EE30944
	v_mfma_f32_16x16x32_fp8_fp8 v[184:187], a[70:71], v[134:135], v[184:187]// 00000001FC3C: D3F300B8 0EE30D46
	v_mfma_f32_16x16x32_fp8_fp8 v[184:187], a[72:73], v[136:137], v[184:187]// 00000001FC44: D3F300B8 0EE31148
	v_mfma_f32_16x16x32_fp8_fp8 v[184:187], a[74:75], v[138:139], v[184:187]// 00000001FC4C: D3F300B8 0EE3154A
	v_mfma_f32_16x16x32_fp8_fp8 v[184:187], a[76:77], v[140:141], v[184:187]// 00000001FC54: D3F300B8 0EE3194C
	v_mfma_f32_16x16x32_fp8_fp8 v[184:187], a[78:79], v[142:143], v[184:187]// 00000001FC5C: D3F300B8 0EE31D4E
	v_mfma_f32_16x16x32_fp8_fp8 v[188:191], a[80:81], v[128:129], 0// 00000001FC64: D3F300BC 0A030150
	v_mfma_f32_16x16x32_fp8_fp8 v[188:191], a[82:83], v[130:131], v[188:191]// 00000001FC6C: D3F300BC 0EF30552
	v_mfma_f32_16x16x32_fp8_fp8 v[188:191], a[84:85], v[132:133], v[188:191]// 00000001FC74: D3F300BC 0EF30954
	v_mfma_f32_16x16x32_fp8_fp8 v[188:191], a[86:87], v[134:135], v[188:191]// 00000001FC7C: D3F300BC 0EF30D56
	v_mfma_f32_16x16x32_fp8_fp8 v[188:191], a[88:89], v[136:137], v[188:191]// 00000001FC84: D3F300BC 0EF31158
	v_mfma_f32_16x16x32_fp8_fp8 v[188:191], a[90:91], v[138:139], v[188:191]// 00000001FC8C: D3F300BC 0EF3155A
	v_mfma_f32_16x16x32_fp8_fp8 v[188:191], a[92:93], v[140:141], v[188:191]// 00000001FC94: D3F300BC 0EF3195C
	v_mfma_f32_16x16x32_fp8_fp8 v[188:191], a[94:95], v[142:143], v[188:191]// 00000001FC9C: D3F300BC 0EF31D5E
	v_mfma_f32_16x16x32_fp8_fp8 v[192:195], a[64:65], v[144:145], 0// 00000001FCA4: D3F300C0 0A032140
	v_mfma_f32_16x16x32_fp8_fp8 v[192:195], a[66:67], v[146:147], v[192:195]// 00000001FCAC: D3F300C0 0F032542
	v_mfma_f32_16x16x32_fp8_fp8 v[192:195], a[68:69], v[148:149], v[192:195]// 00000001FCB4: D3F300C0 0F032944
	v_mfma_f32_16x16x32_fp8_fp8 v[192:195], a[70:71], v[150:151], v[192:195]// 00000001FCBC: D3F300C0 0F032D46
	v_mfma_f32_16x16x32_fp8_fp8 v[192:195], a[72:73], v[152:153], v[192:195]// 00000001FCC4: D3F300C0 0F033148
	v_mfma_f32_16x16x32_fp8_fp8 v[192:195], a[74:75], v[154:155], v[192:195]// 00000001FCCC: D3F300C0 0F03354A
	v_mfma_f32_16x16x32_fp8_fp8 v[192:195], a[76:77], v[156:157], v[192:195]// 00000001FCD4: D3F300C0 0F03394C
	v_mfma_f32_16x16x32_fp8_fp8 v[192:195], a[78:79], v[158:159], v[192:195]// 00000001FCDC: D3F300C0 0F033D4E
	v_mfma_f32_16x16x32_fp8_fp8 v[196:199], a[80:81], v[144:145], 0// 00000001FCE4: D3F300C4 0A032150
	v_mfma_f32_16x16x32_fp8_fp8 v[196:199], a[82:83], v[146:147], v[196:199]// 00000001FCEC: D3F300C4 0F132552
	v_mfma_f32_16x16x32_fp8_fp8 v[196:199], a[84:85], v[148:149], v[196:199]// 00000001FCF4: D3F300C4 0F132954
	v_mfma_f32_16x16x32_fp8_fp8 v[196:199], a[86:87], v[150:151], v[196:199]// 00000001FCFC: D3F300C4 0F132D56
	v_mfma_f32_16x16x32_fp8_fp8 v[196:199], a[88:89], v[152:153], v[196:199]// 00000001FD04: D3F300C4 0F133158
	v_mfma_f32_16x16x32_fp8_fp8 v[196:199], a[90:91], v[154:155], v[196:199]// 00000001FD0C: D3F300C4 0F13355A
	v_mfma_f32_16x16x32_fp8_fp8 v[196:199], a[92:93], v[156:157], v[196:199]// 00000001FD14: D3F300C4 0F13395C
	v_mfma_f32_16x16x32_fp8_fp8 v[196:199], a[94:95], v[158:159], v[196:199]// 00000001FD1C: D3F300C4 0F133D5E
	v_mfma_f32_16x16x32_fp8_fp8 v[200:203], a[64:65], v[160:161], 0// 00000001FD24: D3F300C8 0A034140
	v_mfma_f32_16x16x32_fp8_fp8 v[200:203], a[66:67], v[162:163], v[200:203]// 00000001FD2C: D3F300C8 0F234542
	v_mfma_f32_16x16x32_fp8_fp8 v[200:203], a[68:69], v[164:165], v[200:203]// 00000001FD34: D3F300C8 0F234944
	v_mfma_f32_16x16x32_fp8_fp8 v[200:203], a[70:71], v[166:167], v[200:203]// 00000001FD3C: D3F300C8 0F234D46
	v_mfma_f32_16x16x32_fp8_fp8 v[200:203], a[72:73], v[168:169], v[200:203]// 00000001FD44: D3F300C8 0F235148
	v_mfma_f32_16x16x32_fp8_fp8 v[200:203], a[74:75], v[170:171], v[200:203]// 00000001FD4C: D3F300C8 0F23554A
	v_mfma_f32_16x16x32_fp8_fp8 v[200:203], a[76:77], v[172:173], v[200:203]// 00000001FD54: D3F300C8 0F23594C
	v_mfma_f32_16x16x32_fp8_fp8 v[200:203], a[78:79], v[174:175], v[200:203]// 00000001FD5C: D3F300C8 0F235D4E
	v_mfma_f32_16x16x32_fp8_fp8 v[204:207], a[80:81], v[160:161], 0// 00000001FD64: D3F300CC 0A034150
	v_mfma_f32_16x16x32_fp8_fp8 v[204:207], a[82:83], v[162:163], v[204:207]// 00000001FD6C: D3F300CC 0F334552
	v_mfma_f32_16x16x32_fp8_fp8 v[204:207], a[84:85], v[164:165], v[204:207]// 00000001FD74: D3F300CC 0F334954
	v_mfma_f32_16x16x32_fp8_fp8 v[204:207], a[86:87], v[166:167], v[204:207]// 00000001FD7C: D3F300CC 0F334D56
	v_mfma_f32_16x16x32_fp8_fp8 v[204:207], a[88:89], v[168:169], v[204:207]// 00000001FD84: D3F300CC 0F335158
	v_mfma_f32_16x16x32_fp8_fp8 v[204:207], a[90:91], v[170:171], v[204:207]// 00000001FD8C: D3F300CC 0F33555A
	v_mfma_f32_16x16x32_fp8_fp8 v[204:207], a[92:93], v[172:173], v[204:207]// 00000001FD94: D3F300CC 0F33595C
	v_mfma_f32_16x16x32_fp8_fp8 v[204:207], a[94:95], v[174:175], v[204:207]// 00000001FD9C: D3F300CC 0F335D5E
	v_add_u32_e32 v1, s56, v1                                  // 00000001FDA4: 68020238
	s_addk_i32 s70, 0x100                                      // 00000001FDA8: B7460100
	s_cmp_lt_i32 s70, s71                                      // 00000001FDAC: BF044746
	s_cbranch_scc0 label_6EBC                                  // 00000001FDB0: BF84F7CF
	s_waitcnt vmcnt(8) lgkmcnt(0)                              // 00000001FDB4: BF8C0078
	v_mul_u32_u24_dpp v64, v16, v54 row_newbcast:0 row_mask:0xf bank_mask:0xf// 00000001FDB8: 10806CFA FF015010
	v_mul_u32_u24_dpp v65, v16, v54 row_newbcast:4 row_mask:0xf bank_mask:0xf// 00000001FDC0: 10826CFA FF015410
	v_mul_u32_u24_dpp v66, v16, v54 row_newbcast:8 row_mask:0xf bank_mask:0xf// 00000001FDC8: 10846CFA FF015810
	v_mul_u32_u24_dpp v67, v16, v54 row_newbcast:12 row_mask:0xf bank_mask:0xf// 00000001FDD0: 10866CFA FF015C10
	v_add_u32_e32 v22, v64, v5                                 // 00000001FDD8: 682C0B40
	v_add_u32_e32 v23, v65, v5                                 // 00000001FDDC: 682E0B41
	v_add_u32_e32 v24, v66, v5                                 // 00000001FDE0: 68300B42
	v_add_u32_e32 v25, v67, v5                                 // 00000001FDE4: 68320B43
	v_mul_u32_u24_dpp v64, v16, v63 quad_perm:[0,0,0,0] row_mask:0xf bank_mask:0xf// 00000001FDE8: 10807EFA FF000010
	v_add_u32_e32 v2, v64, v59                                 // 00000001FDF0: 68047740
	v_mul_u32_u24_dpp v64, v16, v63 quad_perm:[0,0,0,0] row_mask:0xf bank_mask:0xf// 00000001FDF4: 10807EFA FF000010
	v_add_u32_e32 v55, v64, v60                                // 00000001FDFC: 686E7940
	v_mfma_f32_16x16x32_fp8_fp8 v[112:115], a[32:33], v[80:81], 0// 00000001FE00: D3F30070 0A02A120
	buffer_load_dwordx4 a[0:3], v22, s[16:19], 0 offen         // 00000001FE08: E05C1000 80840016
	v_mfma_f32_16x16x32_fp8_fp8 v[112:115], a[34:35], v[82:83], v[112:115]// 00000001FE10: D3F30070 0DC2A522
	v_mfma_f32_16x16x32_fp8_fp8 v[112:115], a[36:37], v[84:85], v[112:115]// 00000001FE18: D3F30070 0DC2A924
	buffer_load_dword v17, v1, s[24:27], 0 offen               // 00000001FE20: E0501000 80061101
	v_mfma_f32_16x16x32_fp8_fp8 v[112:115], a[38:39], v[86:87], v[112:115]// 00000001FE28: D3F30070 0DC2AD26
	v_mfma_f32_16x16x32_fp8_fp8 v[116:119], a[40:41], v[80:81], 0// 00000001FE30: D3F30074 0A02A128
	buffer_load_dwordx4 a[4:7], v22, s[16:19], 0 offen offset:1024// 00000001FE38: E05C1400 80840416
	v_mfma_f32_16x16x32_fp8_fp8 v[116:119], a[42:43], v[82:83], v[116:119]// 00000001FE40: D3F30074 0DD2A52A
	v_mfma_f32_16x16x32_fp8_fp8 v[116:119], a[44:45], v[84:85], v[116:119]// 00000001FE48: D3F30074 0DD2A92C
	v_mfma_f32_16x16x32_fp8_fp8 v[116:119], a[46:47], v[86:87], v[116:119]// 00000001FE50: D3F30074 0DD2AD2E
	v_mfma_f32_16x16x32_fp8_fp8 v[120:123], a[48:49], v[80:81], 0// 00000001FE58: D3F30078 0A02A130
	buffer_load_dwordx4 a[8:11], v23, s[16:19], 0 offen        // 00000001FE60: E05C1000 80840817
	v_mfma_f32_16x16x32_fp8_fp8 v[120:123], a[50:51], v[82:83], v[120:123]// 00000001FE68: D3F30078 0DE2A532
	v_mfma_f32_16x16x32_fp8_fp8 v[120:123], a[52:53], v[84:85], v[120:123]// 00000001FE70: D3F30078 0DE2A934
	v_mfma_f32_16x16x32_fp8_fp8 v[120:123], a[54:55], v[86:87], v[120:123]// 00000001FE78: D3F30078 0DE2AD36
	v_mfma_f32_16x16x32_fp8_fp8 v[124:127], a[56:57], v[80:81], 0// 00000001FE80: D3F3007C 0A02A138
	buffer_load_dwordx4 a[12:15], v23, s[16:19], 0 offen offset:1024// 00000001FE88: E05C1400 80840C17
	v_mfma_f32_16x16x32_fp8_fp8 v[124:127], a[58:59], v[82:83], v[124:127]// 00000001FE90: D3F3007C 0DF2A53A
	v_mfma_f32_16x16x32_fp8_fp8 v[124:127], a[60:61], v[84:85], v[124:127]// 00000001FE98: D3F3007C 0DF2A93C
	v_mfma_f32_16x16x32_fp8_fp8 v[124:127], a[62:63], v[86:87], v[124:127]// 00000001FEA0: D3F3007C 0DF2AD3E
	v_mfma_f32_16x16x32_fp8_fp8 v[128:131], a[32:33], v[88:89], 0// 00000001FEA8: D3F30080 0A02B120
	v_mfma_f32_16x16x32_fp8_fp8 v[128:131], a[34:35], v[90:91], v[128:131]// 00000001FEB0: D3F30080 0E02B522
	v_mfma_f32_16x16x32_fp8_fp8 v[128:131], a[36:37], v[92:93], v[128:131]// 00000001FEB8: D3F30080 0E02B924
	v_mfma_f32_16x16x32_fp8_fp8 v[128:131], a[38:39], v[94:95], v[128:131]// 00000001FEC0: D3F30080 0E02BD26
	v_mfma_f32_16x16x32_fp8_fp8 v[132:135], a[40:41], v[88:89], 0// 00000001FEC8: D3F30084 0A02B128
	v_mfma_f32_16x16x32_fp8_fp8 v[132:135], a[42:43], v[90:91], v[132:135]// 00000001FED0: D3F30084 0E12B52A
	v_mfma_f32_16x16x32_fp8_fp8 v[132:135], a[44:45], v[92:93], v[132:135]// 00000001FED8: D3F30084 0E12B92C
	v_mfma_f32_16x16x32_fp8_fp8 v[132:135], a[46:47], v[94:95], v[132:135]// 00000001FEE0: D3F30084 0E12BD2E
	v_mfma_f32_16x16x32_fp8_fp8 v[136:139], a[48:49], v[88:89], 0// 00000001FEE8: D3F30088 0A02B130
	v_mfma_f32_16x16x32_fp8_fp8 v[136:139], a[50:51], v[90:91], v[136:139]// 00000001FEF0: D3F30088 0E22B532
	v_mfma_f32_16x16x32_fp8_fp8 v[136:139], a[52:53], v[92:93], v[136:139]// 00000001FEF8: D3F30088 0E22B934
	v_mfma_f32_16x16x32_fp8_fp8 v[136:139], a[54:55], v[94:95], v[136:139]// 00000001FF00: D3F30088 0E22BD36
	v_mfma_f32_16x16x32_fp8_fp8 v[140:143], a[56:57], v[88:89], 0// 00000001FF08: D3F3008C 0A02B138
	v_mfma_f32_16x16x32_fp8_fp8 v[140:143], a[58:59], v[90:91], v[140:143]// 00000001FF10: D3F3008C 0E32B53A
	v_mfma_f32_16x16x32_fp8_fp8 v[140:143], a[60:61], v[92:93], v[140:143]// 00000001FF18: D3F3008C 0E32B93C
	v_mfma_f32_16x16x32_fp8_fp8 v[140:143], a[62:63], v[94:95], v[140:143]// 00000001FF20: D3F3008C 0E32BD3E
	v_mfma_f32_16x16x32_fp8_fp8 v[144:147], a[32:33], v[96:97], 0// 00000001FF28: D3F30090 0A02C120
	v_mfma_f32_16x16x32_fp8_fp8 v[144:147], a[34:35], v[98:99], v[144:147]// 00000001FF30: D3F30090 0E42C522
	v_mfma_f32_16x16x32_fp8_fp8 v[144:147], a[36:37], v[100:101], v[144:147]// 00000001FF38: D3F30090 0E42C924
	v_mfma_f32_16x16x32_fp8_fp8 v[144:147], a[38:39], v[102:103], v[144:147]// 00000001FF40: D3F30090 0E42CD26
	v_mfma_f32_16x16x32_fp8_fp8 v[148:151], a[40:41], v[96:97], 0// 00000001FF48: D3F30094 0A02C128
	v_mfma_f32_16x16x32_fp8_fp8 v[148:151], a[42:43], v[98:99], v[148:151]// 00000001FF50: D3F30094 0E52C52A
	v_mfma_f32_16x16x32_fp8_fp8 v[148:151], a[44:45], v[100:101], v[148:151]// 00000001FF58: D3F30094 0E52C92C
	v_mfma_f32_16x16x32_fp8_fp8 v[148:151], a[46:47], v[102:103], v[148:151]// 00000001FF60: D3F30094 0E52CD2E
	v_mfma_f32_16x16x32_fp8_fp8 v[152:155], a[48:49], v[96:97], 0// 00000001FF68: D3F30098 0A02C130
	v_mfma_f32_16x16x32_fp8_fp8 v[152:155], a[50:51], v[98:99], v[152:155]// 00000001FF70: D3F30098 0E62C532
	v_mfma_f32_16x16x32_fp8_fp8 v[152:155], a[52:53], v[100:101], v[152:155]// 00000001FF78: D3F30098 0E62C934
	v_mfma_f32_16x16x32_fp8_fp8 v[152:155], a[54:55], v[102:103], v[152:155]// 00000001FF80: D3F30098 0E62CD36
	v_mfma_f32_16x16x32_fp8_fp8 v[156:159], a[56:57], v[96:97], 0// 00000001FF88: D3F3009C 0A02C138
	v_mfma_f32_16x16x32_fp8_fp8 v[156:159], a[58:59], v[98:99], v[156:159]// 00000001FF90: D3F3009C 0E72C53A
	v_mfma_f32_16x16x32_fp8_fp8 v[156:159], a[60:61], v[100:101], v[156:159]// 00000001FF98: D3F3009C 0E72C93C
	v_mfma_f32_16x16x32_fp8_fp8 v[156:159], a[62:63], v[102:103], v[156:159]// 00000001FFA0: D3F3009C 0E72CD3E
	v_mfma_f32_16x16x32_fp8_fp8 v[160:163], a[32:33], v[104:105], 0// 00000001FFA8: D3F300A0 0A02D120
	v_mfma_f32_16x16x32_fp8_fp8 v[160:163], a[34:35], v[106:107], v[160:163]// 00000001FFB0: D3F300A0 0E82D522
	v_mfma_f32_16x16x32_fp8_fp8 v[160:163], a[36:37], v[108:109], v[160:163]// 00000001FFB8: D3F300A0 0E82D924
	v_mfma_f32_16x16x32_fp8_fp8 v[160:163], a[38:39], v[110:111], v[160:163]// 00000001FFC0: D3F300A0 0E82DD26
	v_mfma_f32_16x16x32_fp8_fp8 v[164:167], a[40:41], v[104:105], 0// 00000001FFC8: D3F300A4 0A02D128
	v_mfma_f32_16x16x32_fp8_fp8 v[164:167], a[42:43], v[106:107], v[164:167]// 00000001FFD0: D3F300A4 0E92D52A
	v_mfma_f32_16x16x32_fp8_fp8 v[164:167], a[44:45], v[108:109], v[164:167]// 00000001FFD8: D3F300A4 0E92D92C
	v_mfma_f32_16x16x32_fp8_fp8 v[164:167], a[46:47], v[110:111], v[164:167]// 00000001FFE0: D3F300A4 0E92DD2E
	v_mfma_f32_16x16x32_fp8_fp8 v[168:171], a[48:49], v[104:105], 0// 00000001FFE8: D3F300A8 0A02D130
	v_mfma_f32_16x16x32_fp8_fp8 v[168:171], a[50:51], v[106:107], v[168:171]// 00000001FFF0: D3F300A8 0EA2D532
	v_mfma_f32_16x16x32_fp8_fp8 v[168:171], a[52:53], v[108:109], v[168:171]// 00000001FFF8: D3F300A8 0EA2D934
	v_mfma_f32_16x16x32_fp8_fp8 v[168:171], a[54:55], v[110:111], v[168:171]// 000000020000: D3F300A8 0EA2DD36
	v_mfma_f32_16x16x32_fp8_fp8 v[172:175], a[56:57], v[104:105], 0// 000000020008: D3F300AC 0A02D138
	v_mfma_f32_16x16x32_fp8_fp8 v[172:175], a[58:59], v[106:107], v[172:175]// 000000020010: D3F300AC 0EB2D53A
	v_mfma_f32_16x16x32_fp8_fp8 v[172:175], a[60:61], v[108:109], v[172:175]// 000000020018: D3F300AC 0EB2D93C
	v_mfma_f32_16x16x32_fp8_fp8 v[172:175], a[62:63], v[110:111], v[172:175]// 000000020020: D3F300AC 0EB2DD3E
	buffer_load_dword v42, v2, s[32:35], 0 offen               // 000000020028: E0501000 80082A02
	v_mov_b32_dpp v64, v43 row_shr:4 row_mask:0xf bank_mask:0xf// 000000020030: 7E8002FA FF01142B
	v_mov_b32_dpp v65, v43 row_shl:4 row_mask:0xf bank_mask:0xf// 000000020038: 7E8202FA FF01042B
	v_cndmask_b32_e64 v248, v43, v64, s[44:45]                 // 000000020040: D10000F8 00B2812B
	v_cndmask_b32_e64 v249, v65, v43, s[44:45]                 // 000000020048: D10000F9 00B25741
	v_mov_b32_dpp v64, v248 row_shr:8 row_mask:0xf bank_mask:0xf// 000000020050: 7E8002FA FF0118F8
	v_mov_b32_dpp v65, v248 row_shl:8 row_mask:0xf bank_mask:0xf// 000000020058: 7E8202FA FF0108F8
	v_mov_b32_dpp v66, v249 row_shr:8 row_mask:0xf bank_mask:0xf// 000000020060: 7E8402FA FF0118F9
	v_mov_b32_dpp v67, v249 row_shl:8 row_mask:0xf bank_mask:0xf// 000000020068: 7E8602FA FF0108F9
	v_mov_b32_e32 v68, v248                                    // 000000020070: 7E8803F8
	v_mov_b32_e32 v69, v249                                    // 000000020074: 7E8A03F9
	v_cndmask_b32_e64 v248, v68, v64, s[42:43]                 // 000000020078: D10000F8 00AA8144
	v_cndmask_b32_e64 v250, v68, v65, s[78:79]                 // 000000020080: D10000FA 013A8344
	v_cndmask_b32_e64 v249, v69, v66, s[42:43]                 // 000000020088: D10000F9 00AA8545
	v_cndmask_b32_e64 v251, v69, v67, s[78:79]                 // 000000020090: D10000FB 013A8745
	v_mov_b32_dpp v64, v58 row_shr:4 row_mask:0xf bank_mask:0xf// 000000020098: 7E8002FA FF01143A
	v_mov_b32_dpp v65, v58 row_shl:4 row_mask:0xf bank_mask:0xf// 0000000200A0: 7E8202FA FF01043A
	v_cndmask_b32_e64 v252, v58, v64, s[44:45]                 // 0000000200A8: D10000FC 00B2813A
	v_cndmask_b32_e64 v253, v65, v58, s[44:45]                 // 0000000200B0: D10000FD 00B27541
	v_mov_b32_dpp v64, v252 row_shr:8 row_mask:0xf bank_mask:0xf// 0000000200B8: 7E8002FA FF0118FC
	v_mov_b32_dpp v65, v252 row_shl:8 row_mask:0xf bank_mask:0xf// 0000000200C0: 7E8202FA FF0108FC
	v_mov_b32_dpp v66, v253 row_shr:8 row_mask:0xf bank_mask:0xf// 0000000200C8: 7E8402FA FF0118FD
	v_mov_b32_dpp v67, v253 row_shl:8 row_mask:0xf bank_mask:0xf// 0000000200D0: 7E8602FA FF0108FD
	v_mov_b32_e32 v68, v252                                    // 0000000200D8: 7E8803FC
	v_mov_b32_e32 v69, v253                                    // 0000000200DC: 7E8A03FD
	v_cndmask_b32_e64 v252, v68, v64, s[42:43]                 // 0000000200E0: D10000FC 00AA8144
	v_cndmask_b32_e64 v254, v68, v65, s[78:79]                 // 0000000200E8: D10000FE 013A8344
	v_cndmask_b32_e64 v253, v69, v66, s[42:43]                 // 0000000200F0: D10000FD 00AA8545
	v_cndmask_b32_e64 v255, v69, v67, s[78:79]                 // 0000000200F8: D10000FF 013A8745
	buffer_load_dword v57, v55, s[36:39], 0 offen              // 000000020100: E0501000 80093937
	v_mul_f32_e32 v112, v18, v112                              // 000000020108: 0AE0E112
	v_mul_f32_e32 v113, v18, v113                              // 00000002010C: 0AE2E312
	v_mul_f32_e32 v114, v18, v114                              // 000000020110: 0AE4E512
	v_mul_f32_e32 v115, v18, v115                              // 000000020114: 0AE6E712
	v_mul_f32_e32 v116, v18, v116                              // 000000020118: 0AE8E912
	v_mul_f32_e32 v117, v18, v117                              // 00000002011C: 0AEAEB12
	v_mul_f32_e32 v118, v18, v118                              // 000000020120: 0AECED12
	v_mul_f32_e32 v119, v18, v119                              // 000000020124: 0AEEEF12
	v_mul_f32_e32 v120, v18, v120                              // 000000020128: 0AF0F112
	v_mul_f32_e32 v121, v18, v121                              // 00000002012C: 0AF2F312
	v_mul_f32_e32 v122, v18, v122                              // 000000020130: 0AF4F512
	v_mul_f32_e32 v123, v18, v123                              // 000000020134: 0AF6F712
	v_mul_f32_e32 v124, v18, v124                              // 000000020138: 0AF8F912
	v_mul_f32_e32 v125, v18, v125                              // 00000002013C: 0AFAFB12
	v_mul_f32_e32 v126, v18, v126                              // 000000020140: 0AFCFD12
	v_mul_f32_e32 v127, v18, v127                              // 000000020144: 0AFEFF12
	buffer_load_dwordx4 a[16:19], v24, s[16:19], 0 offen       // 000000020148: E05C1000 80841018
	v_mul_f32_dpp v112, v248, v112 quad_perm:[0,0,0,0] row_mask:0xf bank_mask:0xf// 000000020150: 0AE0E0FA FF0000F8
	v_mul_f32_dpp v113, v248, v113 quad_perm:[1,1,1,1] row_mask:0xf bank_mask:0xf// 000000020158: 0AE2E2FA FF0055F8
	v_mul_f32_dpp v114, v248, v114 quad_perm:[2,2,2,2] row_mask:0xf bank_mask:0xf// 000000020160: 0AE4E4FA FF00AAF8
	v_mul_f32_dpp v115, v248, v115 quad_perm:[3,3,3,3] row_mask:0xf bank_mask:0xf// 000000020168: 0AE6E6FA FF00FFF8
	v_mul_f32_dpp v116, v249, v116 quad_perm:[0,0,0,0] row_mask:0xf bank_mask:0xf// 000000020170: 0AE8E8FA FF0000F9
	v_mul_f32_dpp v117, v249, v117 quad_perm:[1,1,1,1] row_mask:0xf bank_mask:0xf// 000000020178: 0AEAEAFA FF0055F9
	v_mul_f32_dpp v118, v249, v118 quad_perm:[2,2,2,2] row_mask:0xf bank_mask:0xf// 000000020180: 0AECECFA FF00AAF9
	v_mul_f32_dpp v119, v249, v119 quad_perm:[3,3,3,3] row_mask:0xf bank_mask:0xf// 000000020188: 0AEEEEFA FF00FFF9
	v_mul_f32_dpp v120, v250, v120 quad_perm:[0,0,0,0] row_mask:0xf bank_mask:0xf// 000000020190: 0AF0F0FA FF0000FA
	v_mul_f32_dpp v121, v250, v121 quad_perm:[1,1,1,1] row_mask:0xf bank_mask:0xf// 000000020198: 0AF2F2FA FF0055FA
	v_mul_f32_dpp v122, v250, v122 quad_perm:[2,2,2,2] row_mask:0xf bank_mask:0xf// 0000000201A0: 0AF4F4FA FF00AAFA
	v_mul_f32_dpp v123, v250, v123 quad_perm:[3,3,3,3] row_mask:0xf bank_mask:0xf// 0000000201A8: 0AF6F6FA FF00FFFA
	v_mul_f32_dpp v124, v251, v124 quad_perm:[0,0,0,0] row_mask:0xf bank_mask:0xf// 0000000201B0: 0AF8F8FA FF0000FB
	v_mul_f32_dpp v125, v251, v125 quad_perm:[1,1,1,1] row_mask:0xf bank_mask:0xf// 0000000201B8: 0AFAFAFA FF0055FB
	v_mul_f32_dpp v126, v251, v126 quad_perm:[2,2,2,2] row_mask:0xf bank_mask:0xf// 0000000201C0: 0AFCFCFA FF00AAFB
	v_mul_f32_dpp v127, v251, v127 quad_perm:[3,3,3,3] row_mask:0xf bank_mask:0xf// 0000000201C8: 0AFEFEFA FF00FFFB
	buffer_load_dwordx4 a[20:23], v24, s[16:19], 0 offen offset:1024// 0000000201D0: E05C1400 80841418
	v_mov_b32_e32 v48, v112                                    // 0000000201D8: 7E600370
	v_max3_f32 v48, v112, v113, v48                            // 0000000201DC: D1D30030 04C2E370
	v_max3_f32 v48, v114, v115, v48                            // 0000000201E4: D1D30030 04C2E772
	v_max3_f32 v48, v116, v117, v48                            // 0000000201EC: D1D30030 04C2EB74
	v_max3_f32 v48, v118, v119, v48                            // 0000000201F4: D1D30030 04C2EF76
	v_max3_f32 v48, v120, v121, v48                            // 0000000201FC: D1D30030 04C2F378
	v_max3_f32 v48, v122, v123, v48                            // 000000020204: D1D30030 04C2F77A
	v_max3_f32 v48, v124, v125, v48                            // 00000002020C: D1D30030 04C2FB7C
	v_max3_f32 v48, v126, v127, v48                            // 000000020214: D1D30030 04C2FF7E
	ds_write_b32 v8, v48 offset:16896                          // 00000002021C: D81A4200 00003008
	buffer_load_dwordx4 a[24:27], v25, s[16:19], 0 offen       // 000000020224: E05C1000 80841819
	v_mul_u32_u24_dpp v64, v16, v54 row_newbcast:1 row_mask:0xf bank_mask:0xf// 00000002022C: 10806CFA FF015110
	v_mul_u32_u24_dpp v65, v16, v54 row_newbcast:5 row_mask:0xf bank_mask:0xf// 000000020234: 10826CFA FF015510
	v_mul_u32_u24_dpp v66, v16, v54 row_newbcast:9 row_mask:0xf bank_mask:0xf// 00000002023C: 10846CFA FF015910
	v_mul_u32_u24_dpp v67, v16, v54 row_newbcast:13 row_mask:0xf bank_mask:0xf// 000000020244: 10866CFA FF015D10
	v_add_u32_e32 v30, v64, v6                                 // 00000002024C: 683C0D40
	v_add_u32_e32 v31, v65, v6                                 // 000000020250: 683E0D41
	v_add_u32_e32 v32, v66, v6                                 // 000000020254: 68400D42
	v_add_u32_e32 v33, v67, v6                                 // 000000020258: 68420D43
	v_mul_f32_e32 v208, v49, v208                              // 00000002025C: 0BA1A131
	v_mul_f32_e32 v209, v49, v209                              // 000000020260: 0BA3A331
	v_mul_f32_e32 v210, v49, v210                              // 000000020264: 0BA5A531
	v_mul_f32_e32 v211, v49, v211                              // 000000020268: 0BA7A731
	v_mul_f32_e32 v212, v49, v212                              // 00000002026C: 0BA9A931
	v_mul_f32_e32 v213, v49, v213                              // 000000020270: 0BABAB31
	v_mul_f32_e32 v214, v49, v214                              // 000000020274: 0BADAD31
	v_mul_f32_e32 v215, v49, v215                              // 000000020278: 0BAFAF31
	s_waitcnt lgkmcnt(0)                                       // 00000002027C: BF8CC07F
	s_barrier                                                  // 000000020280: BF8A0000
	ds_read_b32 v64, v7 offset:16896                           // 000000020284: D86C4200 40000007
	ds_read_b32 v65, v7 offset:16960                           // 00000002028C: D86C4240 41000007
	ds_read_b32 v66, v7 offset:17024                           // 000000020294: D86C4280 42000007
	ds_read_b32 v67, v7 offset:17088                           // 00000002029C: D86C42C0 43000007
	ds_read_b32 v68, v7 offset:17152                           // 0000000202A4: D86C4300 44000007
	ds_read_b32 v69, v7 offset:17216                           // 0000000202AC: D86C4340 45000007
	ds_read_b32 v70, v7 offset:17280                           // 0000000202B4: D86C4380 46000007
	ds_read_b32 v71, v7 offset:17344                           // 0000000202BC: D86C43C0 47000007
	ds_read_b32 v72, v7 offset:17408                           // 0000000202C4: D86C4400 48000007
	ds_read_b32 v73, v7 offset:17472                           // 0000000202CC: D86C4440 49000007
	ds_read_b32 v74, v7 offset:17536                           // 0000000202D4: D86C4480 4A000007
	ds_read_b32 v75, v7 offset:17600                           // 0000000202DC: D86C44C0 4B000007
	ds_read_b32 v76, v7 offset:17664                           // 0000000202E4: D86C4500 4C000007
	ds_read_b32 v77, v7 offset:17728                           // 0000000202EC: D86C4540 4D000007
	ds_read_b32 v78, v7 offset:17792                           // 0000000202F4: D86C4580 4E000007
	ds_read_b32 v79, v7 offset:17856                           // 0000000202FC: D86C45C0 4F000007
	buffer_load_dwordx4 a[28:31], v25, s[16:19], 0 offen offset:1024// 000000020304: E05C1400 80841C19
	v_mul_f32_e32 v176, v44, v176                              // 00000002030C: 0B61612C
	v_mul_f32_e32 v177, v44, v177                              // 000000020310: 0B63632C
	v_mul_f32_e32 v178, v44, v178                              // 000000020314: 0B65652C
	v_mul_f32_e32 v179, v44, v179                              // 000000020318: 0B67672C
	v_mul_f32_e32 v180, v44, v180                              // 00000002031C: 0B69692C
	v_mul_f32_e32 v181, v44, v181                              // 000000020320: 0B6B6B2C
	v_mul_f32_e32 v182, v44, v182                              // 000000020324: 0B6D6D2C
	v_mul_f32_e32 v183, v44, v183                              // 000000020328: 0B6F6F2C
	s_waitcnt lgkmcnt(0)                                       // 00000002032C: BF8CC07F
	v_max3_f32 v48, v64, v65, v48                              // 000000020330: D1D30030 04C28340
	v_max3_f32 v48, v66, v67, v48                              // 000000020338: D1D30030 04C28742
	v_max3_f32 v48, v68, v69, v48                              // 000000020340: D1D30030 04C28B44
	v_max3_f32 v48, v70, v71, v48                              // 000000020348: D1D30030 04C28F46
	v_max3_f32 v48, v72, v73, v48                              // 000000020350: D1D30030 04C29348
	v_max3_f32 v48, v74, v75, v48                              // 000000020358: D1D30030 04C2974A
	v_max3_f32 v48, v76, v77, v48                              // 000000020360: D1D30030 04C29B4C
	v_max3_f32 v48, v78, v79, v48                              // 000000020368: D1D30030 04C29F4E
	buffer_load_dwordx4 a[64:67], v30, s[20:23], 0 offen       // 000000020370: E05C1000 8085401E
	v_mov_b32_e32 v64, 0xff800000                              // 000000020378: 7E8002FF FF800000
	v_cmp_eq_u32_e64 s[40:41], v64, v11                        // 000000020380: D0CA0028 00021740
	s_nop 1                                                    // 000000020388: BF800001
	v_max_f32_e32 v15, v48, v11                                // 00000002038C: 161E1730
	v_mul_f32_e32 v53, s64, v15                                // 000000020390: 0A6A1E40
	v_fma_f32 v112, v112, s64, -v53                            // 000000020394: D1CB0070 84D48170
	v_fma_f32 v113, v113, s64, -v53                            // 00000002039C: D1CB0071 84D48171
	v_fma_f32 v114, v114, s64, -v53                            // 0000000203A4: D1CB0072 84D48172
	v_fma_f32 v115, v115, s64, -v53                            // 0000000203AC: D1CB0073 84D48173
	v_fma_f32 v116, v116, s64, -v53                            // 0000000203B4: D1CB0074 84D48174
	v_fma_f32 v117, v117, s64, -v53                            // 0000000203BC: D1CB0075 84D48175
	v_fma_f32 v118, v118, s64, -v53                            // 0000000203C4: D1CB0076 84D48176
	v_fma_f32 v119, v119, s64, -v53                            // 0000000203CC: D1CB0077 84D48177
	v_fma_f32 v120, v120, s64, -v53                            // 0000000203D4: D1CB0078 84D48178
	v_fma_f32 v121, v121, s64, -v53                            // 0000000203DC: D1CB0079 84D48179
	v_fma_f32 v122, v122, s64, -v53                            // 0000000203E4: D1CB007A 84D4817A
	v_fma_f32 v123, v123, s64, -v53                            // 0000000203EC: D1CB007B 84D4817B
	v_fma_f32 v124, v124, s64, -v53                            // 0000000203F4: D1CB007C 84D4817C
	v_fma_f32 v125, v125, s64, -v53                            // 0000000203FC: D1CB007D 84D4817D
	v_fma_f32 v126, v126, s64, -v53                            // 000000020404: D1CB007E 84D4817E
	v_fma_f32 v127, v127, s64, -v53                            // 00000002040C: D1CB007F 84D4817F
	buffer_load_dwordx4 a[68:71], v31, s[20:23], 0 offen       // 000000020414: E05C1000 8085441F
	v_exp_f32_e32 v112, v112                                   // 00000002041C: 7EE04170
	v_exp_f32_e32 v113, v113                                   // 000000020420: 7EE24171
	v_exp_f32_e32 v114, v114                                   // 000000020424: 7EE44172
	v_exp_f32_e32 v115, v115                                   // 000000020428: 7EE64173
	v_exp_f32_e32 v116, v116                                   // 00000002042C: 7EE84174
	v_exp_f32_e32 v117, v117                                   // 000000020430: 7EEA4175
	v_exp_f32_e32 v118, v118                                   // 000000020434: 7EEC4176
	v_exp_f32_e32 v119, v119                                   // 000000020438: 7EEE4177
	v_exp_f32_e32 v120, v120                                   // 00000002043C: 7EF04178
	v_exp_f32_e32 v121, v121                                   // 000000020440: 7EF24179
	v_exp_f32_e32 v122, v122                                   // 000000020444: 7EF4417A
	v_exp_f32_e32 v123, v123                                   // 000000020448: 7EF6417B
	v_exp_f32_e32 v124, v124                                   // 00000002044C: 7EF8417C
	v_exp_f32_e32 v125, v125                                   // 000000020450: 7EFA417D
	v_exp_f32_e32 v126, v126                                   // 000000020454: 7EFC417E
	v_exp_f32_e32 v127, v127                                   // 000000020458: 7EFE417F
	buffer_load_dwordx4 a[72:75], v32, s[20:23], 0 offen       // 00000002045C: E05C1000 80854820
	v_mul_f32_dpp v240, v252, v112 quad_perm:[0,0,0,0] row_mask:0xf bank_mask:0xf// 000000020464: 0BE0E0FA FF0000FC
	v_mul_f32_dpp v241, v252, v113 quad_perm:[1,1,1,1] row_mask:0xf bank_mask:0xf// 00000002046C: 0BE2E2FA FF0055FC
	v_mul_f32_dpp v242, v252, v114 quad_perm:[2,2,2,2] row_mask:0xf bank_mask:0xf// 000000020474: 0BE4E4FA FF00AAFC
	v_mul_f32_dpp v243, v252, v115 quad_perm:[3,3,3,3] row_mask:0xf bank_mask:0xf// 00000002047C: 0BE6E6FA FF00FFFC
	v_mul_f32_dpp v244, v253, v116 quad_perm:[0,0,0,0] row_mask:0xf bank_mask:0xf// 000000020484: 0BE8E8FA FF0000FD
	v_mul_f32_dpp v245, v253, v117 quad_perm:[1,1,1,1] row_mask:0xf bank_mask:0xf// 00000002048C: 0BEAEAFA FF0055FD
	v_mul_f32_dpp v246, v253, v118 quad_perm:[2,2,2,2] row_mask:0xf bank_mask:0xf// 000000020494: 0BECECFA FF00AAFD
	v_mul_f32_dpp v247, v253, v119 quad_perm:[3,3,3,3] row_mask:0xf bank_mask:0xf// 00000002049C: 0BEEEEFA FF00FFFD
	v_mul_f32_dpp v248, v254, v120 quad_perm:[0,0,0,0] row_mask:0xf bank_mask:0xf// 0000000204A4: 0BF0F0FA FF0000FE
	v_mul_f32_dpp v249, v254, v121 quad_perm:[1,1,1,1] row_mask:0xf bank_mask:0xf// 0000000204AC: 0BF2F2FA FF0055FE
	v_mul_f32_dpp v250, v254, v122 quad_perm:[2,2,2,2] row_mask:0xf bank_mask:0xf// 0000000204B4: 0BF4F4FA FF00AAFE
	v_mul_f32_dpp v251, v254, v123 quad_perm:[3,3,3,3] row_mask:0xf bank_mask:0xf// 0000000204BC: 0BF6F6FA FF00FFFE
	v_mul_f32_dpp v252, v255, v124 quad_perm:[0,0,0,0] row_mask:0xf bank_mask:0xf// 0000000204C4: 0BF8F8FA FF0000FF
	v_mul_f32_dpp v253, v255, v125 quad_perm:[1,1,1,1] row_mask:0xf bank_mask:0xf// 0000000204CC: 0BFAFAFA FF0055FF
	v_mul_f32_dpp v254, v255, v126 quad_perm:[2,2,2,2] row_mask:0xf bank_mask:0xf// 0000000204D4: 0BFCFCFA FF00AAFF
	v_mul_f32_dpp v255, v255, v127 quad_perm:[3,3,3,3] row_mask:0xf bank_mask:0xf// 0000000204DC: 0BFEFEFA FF00FFFF
	v_mov_b32_e32 v48, 0x358637bd                              // 0000000204E4: 7E6002FF 358637BD
	v_max3_f32 v48, |v240|, |v241|, v48                        // 0000000204EC: D1D30330 04C3E3F0
	v_max3_f32 v48, |v242|, |v243|, v48                        // 0000000204F4: D1D30330 04C3E7F2
	v_max3_f32 v48, |v244|, |v245|, v48                        // 0000000204FC: D1D30330 04C3EBF4
	v_max3_f32 v48, |v246|, |v247|, v48                        // 000000020504: D1D30330 04C3EFF6
	v_max3_f32 v48, |v248|, |v249|, v48                        // 00000002050C: D1D30330 04C3F3F8
	v_max3_f32 v48, |v250|, |v251|, v48                        // 000000020514: D1D30330 04C3F7FA
	v_max3_f32 v48, |v252|, |v253|, v48                        // 00000002051C: D1D30330 04C3FBFC
	v_max3_f32 v48, |v254|, |v255|, v48                        // 000000020524: D1D30330 04C3FFFE
	buffer_load_dwordx4 a[76:79], v33, s[20:23], 0 offen       // 00000002052C: E05C1000 80854C21
	ds_write_b32 v8, v48 offset:20992                          // 000000020534: D81A5200 00003008
	v_sub_f32_e32 v49, v11, v15                                // 00000002053C: 04621F0B
	v_cndmask_b32_e64 v49, v49, 0, s[40:41]                    // 000000020540: D1000031 00A10131
	v_mov_b32_e32 v11, v15                                     // 000000020548: 7E16030F
	v_mul_f32_e32 v49, s64, v49                                // 00000002054C: 0A626240
	v_exp_f32_e32 v49, v49                                     // 000000020550: 7E624131
	s_waitcnt lgkmcnt(0)                                       // 000000020554: BF8CC07F
	s_barrier                                                  // 000000020558: BF8A0000
	ds_read_b32 v64, v7 offset:20992                           // 00000002055C: D86C5200 40000007
	ds_read_b32 v65, v7 offset:21056                           // 000000020564: D86C5240 41000007
	ds_read_b32 v66, v7 offset:21120                           // 00000002056C: D86C5280 42000007
	ds_read_b32 v67, v7 offset:21184                           // 000000020574: D86C52C0 43000007
	ds_read_b32 v68, v7 offset:21248                           // 00000002057C: D86C5300 44000007
	ds_read_b32 v69, v7 offset:21312                           // 000000020584: D86C5340 45000007
	ds_read_b32 v70, v7 offset:21376                           // 00000002058C: D86C5380 46000007
	ds_read_b32 v71, v7 offset:21440                           // 000000020594: D86C53C0 47000007
	ds_read_b32 v72, v7 offset:21504                           // 00000002059C: D86C5400 48000007
	ds_read_b32 v73, v7 offset:21568                           // 0000000205A4: D86C5440 49000007
	ds_read_b32 v74, v7 offset:21632                           // 0000000205AC: D86C5480 4A000007
	ds_read_b32 v75, v7 offset:21696                           // 0000000205B4: D86C54C0 4B000007
	ds_read_b32 v76, v7 offset:21760                           // 0000000205BC: D86C5500 4C000007
	ds_read_b32 v77, v7 offset:21824                           // 0000000205C4: D86C5540 4D000007
	ds_read_b32 v78, v7 offset:21888                           // 0000000205CC: D86C5580 4E000007
	ds_read_b32 v79, v7 offset:21952                           // 0000000205D4: D86C55C0 4F000007
	v_mul_f32_e32 v38, v49, v38                                // 0000000205DC: 0A4C4D31
	v_mov_b32_e32 v15, v112                                    // 0000000205E0: 7E1E0370
	v_add_f32_e32 v15, v113, v15                               // 0000000205E4: 021E1F71
	v_add_f32_e32 v15, v114, v15                               // 0000000205E8: 021E1F72
	v_add_f32_e32 v15, v115, v15                               // 0000000205EC: 021E1F73
	v_add_f32_e32 v15, v116, v15                               // 0000000205F0: 021E1F74
	v_add_f32_e32 v15, v117, v15                               // 0000000205F4: 021E1F75
	v_add_f32_e32 v15, v118, v15                               // 0000000205F8: 021E1F76
	v_add_f32_e32 v15, v119, v15                               // 0000000205FC: 021E1F77
	v_add_f32_e32 v15, v120, v15                               // 000000020600: 021E1F78
	v_add_f32_e32 v15, v121, v15                               // 000000020604: 021E1F79
	v_add_f32_e32 v15, v122, v15                               // 000000020608: 021E1F7A
	v_add_f32_e32 v15, v123, v15                               // 00000002060C: 021E1F7B
	v_add_f32_e32 v15, v124, v15                               // 000000020610: 021E1F7C
	v_add_f32_e32 v15, v125, v15                               // 000000020614: 021E1F7D
	v_add_f32_e32 v15, v126, v15                               // 000000020618: 021E1F7E
	v_add_f32_e32 v15, v127, v15                               // 00000002061C: 021E1F7F
	v_add_f32_e32 v38, v15, v38                                // 000000020620: 024C4D0F
	s_waitcnt lgkmcnt(0)                                       // 000000020624: BF8CC07F
	v_max3_f32 v48, |v64|, |v65|, v48                          // 000000020628: D1D30330 04C28340
	v_max3_f32 v48, |v66|, |v67|, v48                          // 000000020630: D1D30330 04C28742
	v_max3_f32 v48, |v68|, |v69|, v48                          // 000000020638: D1D30330 04C28B44
	v_max3_f32 v48, |v70|, |v71|, v48                          // 000000020640: D1D30330 04C28F46
	v_max3_f32 v48, |v72|, |v73|, v48                          // 000000020648: D1D30330 04C29348
	v_max3_f32 v48, |v74|, |v75|, v48                          // 000000020650: D1D30330 04C2974A
	v_max3_f32 v48, |v76|, |v77|, v48                          // 000000020658: D1D30330 04C29B4C
	v_max3_f32 v48, |v78|, |v79|, v48                          // 000000020660: D1D30330 04C29F4E
	s_nop 2                                                    // 000000020668: BF800002
	v_rcp_f32_e32 v48, v48                                     // 00000002066C: 7E604530
	s_nop 1                                                    // 000000020670: BF800001
	v_mul_f32_e32 v48, 0x43e00000, v48                         // 000000020674: 0A6060FF 43E00000
	v_mul_f32_e32 v112, v48, v240                              // 00000002067C: 0AE1E130
	v_mul_f32_e32 v113, v48, v241                              // 000000020680: 0AE3E330
	v_mul_f32_e32 v114, v48, v242                              // 000000020684: 0AE5E530
	v_mul_f32_e32 v115, v48, v243                              // 000000020688: 0AE7E730
	v_mul_f32_e32 v116, v48, v244                              // 00000002068C: 0AE9E930
	v_mul_f32_e32 v117, v48, v245                              // 000000020690: 0AEBEB30
	v_mul_f32_e32 v118, v48, v246                              // 000000020694: 0AEDED30
	v_mul_f32_e32 v119, v48, v247                              // 000000020698: 0AEFEF30
	v_mul_f32_e32 v120, v48, v248                              // 00000002069C: 0AF1F130
	v_mul_f32_e32 v121, v48, v249                              // 0000000206A0: 0AF3F330
	v_mul_f32_e32 v122, v48, v250                              // 0000000206A4: 0AF5F530
	v_mul_f32_e32 v123, v48, v251                              // 0000000206A8: 0AF7F730
	v_mul_f32_e32 v124, v48, v252                              // 0000000206AC: 0AF9F930
	v_mul_f32_e32 v125, v48, v253                              // 0000000206B0: 0AFBFB30
	v_mul_f32_e32 v126, v48, v254                              // 0000000206B4: 0AFDFD30
	v_mul_f32_e32 v127, v48, v255                              // 0000000206B8: 0AFFFF30
	v_cvt_pk_fp8_f32 v112, v112, v113                          // 0000000206BC: D2A20070 0002E370
	v_cvt_pk_fp8_f32 v112, v114, v115 op_sel:[0,0,1]           // 0000000206C4: D2A24070 0002E772
	v_cvt_pk_fp8_f32 v113, v116, v117                          // 0000000206CC: D2A20071 0002EB74
	v_cvt_pk_fp8_f32 v113, v118, v119 op_sel:[0,0,1]           // 0000000206D4: D2A24071 0002EF76
	v_cvt_pk_fp8_f32 v114, v120, v121                          // 0000000206DC: D2A20072 0002F378
	v_cvt_pk_fp8_f32 v114, v122, v123 op_sel:[0,0,1]           // 0000000206E4: D2A24072 0002F77A
	v_cvt_pk_fp8_f32 v115, v124, v125                          // 0000000206EC: D2A20073 0002FB7C
	v_cvt_pk_fp8_f32 v115, v126, v127 op_sel:[0,0,1]           // 0000000206F4: D2A24073 0002FF7E
	ds_write_b32 v10, v112 offset:25088                        // 0000000206FC: D81A6200 0000700A
	ds_write_b32 v10, v113 offset:26112                        // 000000020704: D81A6600 0000710A
	ds_write_b32 v10, v114 offset:27136                        // 00000002070C: D81A6A00 0000720A
	ds_write_b32 v10, v115 offset:28160                        // 000000020714: D81A6E00 0000730A
	v_add_f32_e32 v208, v208, v176                             // 00000002071C: 03A161D0
	v_add_f32_e32 v209, v209, v177                             // 000000020720: 03A363D1
	v_add_f32_e32 v210, v210, v178                             // 000000020724: 03A565D2
	v_add_f32_e32 v211, v211, v179                             // 000000020728: 03A767D3
	v_add_f32_e32 v212, v212, v180                             // 00000002072C: 03A969D4
	v_add_f32_e32 v213, v213, v181                             // 000000020730: 03AB6BD5
	v_add_f32_e32 v214, v214, v182                             // 000000020734: 03AD6DD6
	v_add_f32_e32 v215, v215, v183                             // 000000020738: 03AF6FD7
	v_rcp_f32_e32 v44, v48                                     // 00000002073C: 7E584530
	s_waitcnt lgkmcnt(0)                                       // 000000020740: BF8CC07F
	s_barrier                                                  // 000000020744: BF8A0000
	ds_read_b64 v[112:113], v9 offset:25088                    // 000000020748: D8EC6200 70000009
	ds_read_b64 v[114:115], v9 offset:25216                    // 000000020750: D8EC6280 72000009
	ds_read_b64 v[116:117], v9 offset:26112                    // 000000020758: D8EC6600 74000009
	ds_read_b64 v[118:119], v9 offset:26240                    // 000000020760: D8EC6680 76000009
	ds_read_b64 v[120:121], v9 offset:27136                    // 000000020768: D8EC6A00 78000009
	ds_read_b64 v[122:123], v9 offset:27264                    // 000000020770: D8EC6A80 7A000009
	ds_read_b64 v[124:125], v9 offset:28160                    // 000000020778: D8EC6E00 7C000009
	ds_read_b64 v[126:127], v9 offset:28288                    // 000000020780: D8EC6E80 7E000009
	v_mov_b32_dpp v64, v43 row_shr:4 row_mask:0xf bank_mask:0xf// 000000020788: 7E8002FA FF01142B
	v_mov_b32_dpp v65, v43 row_shl:4 row_mask:0xf bank_mask:0xf// 000000020790: 7E8202FA FF01042B
	v_cndmask_b32_e64 v248, v43, v64, s[44:45]                 // 000000020798: D10000F8 00B2812B
	v_cndmask_b32_e64 v249, v65, v43, s[44:45]                 // 0000000207A0: D10000F9 00B25741
	v_mov_b32_dpp v64, v248 row_shr:8 row_mask:0xf bank_mask:0xf// 0000000207A8: 7E8002FA FF0118F8
	v_mov_b32_dpp v65, v248 row_shl:8 row_mask:0xf bank_mask:0xf// 0000000207B0: 7E8202FA FF0108F8
	v_mov_b32_dpp v66, v249 row_shr:8 row_mask:0xf bank_mask:0xf// 0000000207B8: 7E8402FA FF0118F9
	v_mov_b32_dpp v67, v249 row_shl:8 row_mask:0xf bank_mask:0xf// 0000000207C0: 7E8602FA FF0108F9
	v_mov_b32_e32 v68, v248                                    // 0000000207C8: 7E8803F8
	v_mov_b32_e32 v69, v249                                    // 0000000207CC: 7E8A03F9
	v_cndmask_b32_e64 v248, v68, v64, s[42:43]                 // 0000000207D0: D10000F8 00AA8144
	v_cndmask_b32_e64 v250, v68, v65, s[78:79]                 // 0000000207D8: D10000FA 013A8344
	v_cndmask_b32_e64 v249, v69, v66, s[42:43]                 // 0000000207E0: D10000F9 00AA8545
	v_cndmask_b32_e64 v251, v69, v67, s[78:79]                 // 0000000207E8: D10000FB 013A8745
	v_mov_b32_dpp v64, v58 row_shr:4 row_mask:0xf bank_mask:0xf// 0000000207F0: 7E8002FA FF01143A
	v_mov_b32_dpp v65, v58 row_shl:4 row_mask:0xf bank_mask:0xf// 0000000207F8: 7E8202FA FF01043A
	v_cndmask_b32_e64 v252, v58, v64, s[44:45]                 // 000000020800: D10000FC 00B2813A
	v_cndmask_b32_e64 v253, v65, v58, s[44:45]                 // 000000020808: D10000FD 00B27541
	v_mov_b32_dpp v64, v252 row_shr:8 row_mask:0xf bank_mask:0xf// 000000020810: 7E8002FA FF0118FC
	v_mov_b32_dpp v65, v252 row_shl:8 row_mask:0xf bank_mask:0xf// 000000020818: 7E8202FA FF0108FC
	v_mov_b32_dpp v66, v253 row_shr:8 row_mask:0xf bank_mask:0xf// 000000020820: 7E8402FA FF0118FD
	v_mov_b32_dpp v67, v253 row_shl:8 row_mask:0xf bank_mask:0xf// 000000020828: 7E8602FA FF0108FD
	v_mov_b32_e32 v68, v252                                    // 000000020830: 7E8803FC
	v_mov_b32_e32 v69, v253                                    // 000000020834: 7E8A03FD
	v_cndmask_b32_e64 v252, v68, v64, s[42:43]                 // 000000020838: D10000FC 00AA8144
	v_cndmask_b32_e64 v254, v68, v65, s[78:79]                 // 000000020840: D10000FE 013A8344
	v_cndmask_b32_e64 v253, v69, v66, s[42:43]                 // 000000020848: D10000FD 00AA8545
	v_cndmask_b32_e64 v255, v69, v67, s[78:79]                 // 000000020850: D10000FF 013A8745
	v_mul_f32_e32 v128, v19, v128                              // 000000020858: 0B010113
	v_mul_f32_e32 v129, v19, v129                              // 00000002085C: 0B030313
	v_mul_f32_e32 v130, v19, v130                              // 000000020860: 0B050513
	v_mul_f32_e32 v131, v19, v131                              // 000000020864: 0B070713
	v_mul_f32_e32 v132, v19, v132                              // 000000020868: 0B090913
	v_mul_f32_e32 v133, v19, v133                              // 00000002086C: 0B0B0B13
	v_mul_f32_e32 v134, v19, v134                              // 000000020870: 0B0D0D13
	v_mul_f32_e32 v135, v19, v135                              // 000000020874: 0B0F0F13
	v_mul_f32_e32 v136, v19, v136                              // 000000020878: 0B111113
	v_mul_f32_e32 v137, v19, v137                              // 00000002087C: 0B131313
	v_mul_f32_e32 v138, v19, v138                              // 000000020880: 0B151513
	v_mul_f32_e32 v139, v19, v139                              // 000000020884: 0B171713
	v_mul_f32_e32 v140, v19, v140                              // 000000020888: 0B191913
	v_mul_f32_e32 v141, v19, v141                              // 00000002088C: 0B1B1B13
	v_mul_f32_e32 v142, v19, v142                              // 000000020890: 0B1D1D13
	v_mul_f32_e32 v143, v19, v143                              // 000000020894: 0B1F1F13
	v_mul_f32_dpp v128, v248, v128 quad_perm:[0,0,0,0] row_mask:0xf bank_mask:0xf// 000000020898: 0B0100FA FF0000F8
	v_mul_f32_dpp v129, v248, v129 quad_perm:[1,1,1,1] row_mask:0xf bank_mask:0xf// 0000000208A0: 0B0302FA FF0055F8
	v_mul_f32_dpp v130, v248, v130 quad_perm:[2,2,2,2] row_mask:0xf bank_mask:0xf// 0000000208A8: 0B0504FA FF00AAF8
	v_mul_f32_dpp v131, v248, v131 quad_perm:[3,3,3,3] row_mask:0xf bank_mask:0xf// 0000000208B0: 0B0706FA FF00FFF8
	v_mul_f32_dpp v132, v249, v132 quad_perm:[0,0,0,0] row_mask:0xf bank_mask:0xf// 0000000208B8: 0B0908FA FF0000F9
	v_mul_f32_dpp v133, v249, v133 quad_perm:[1,1,1,1] row_mask:0xf bank_mask:0xf// 0000000208C0: 0B0B0AFA FF0055F9
	v_mul_f32_dpp v134, v249, v134 quad_perm:[2,2,2,2] row_mask:0xf bank_mask:0xf// 0000000208C8: 0B0D0CFA FF00AAF9
	v_mul_f32_dpp v135, v249, v135 quad_perm:[3,3,3,3] row_mask:0xf bank_mask:0xf// 0000000208D0: 0B0F0EFA FF00FFF9
	v_mul_f32_dpp v136, v250, v136 quad_perm:[0,0,0,0] row_mask:0xf bank_mask:0xf// 0000000208D8: 0B1110FA FF0000FA
	v_mul_f32_dpp v137, v250, v137 quad_perm:[1,1,1,1] row_mask:0xf bank_mask:0xf// 0000000208E0: 0B1312FA FF0055FA
	v_mul_f32_dpp v138, v250, v138 quad_perm:[2,2,2,2] row_mask:0xf bank_mask:0xf// 0000000208E8: 0B1514FA FF00AAFA
	v_mul_f32_dpp v139, v250, v139 quad_perm:[3,3,3,3] row_mask:0xf bank_mask:0xf// 0000000208F0: 0B1716FA FF00FFFA
	v_mul_f32_dpp v140, v251, v140 quad_perm:[0,0,0,0] row_mask:0xf bank_mask:0xf// 0000000208F8: 0B1918FA FF0000FB
	v_mul_f32_dpp v141, v251, v141 quad_perm:[1,1,1,1] row_mask:0xf bank_mask:0xf// 000000020900: 0B1B1AFA FF0055FB
	v_mul_f32_dpp v142, v251, v142 quad_perm:[2,2,2,2] row_mask:0xf bank_mask:0xf// 000000020908: 0B1D1CFA FF00AAFB
	v_mul_f32_dpp v143, v251, v143 quad_perm:[3,3,3,3] row_mask:0xf bank_mask:0xf// 000000020910: 0B1F1EFA FF00FFFB
	v_mov_b32_e32 v48, v128                                    // 000000020918: 7E600380
	v_max3_f32 v48, v128, v129, v48                            // 00000002091C: D1D30030 04C30380
	v_max3_f32 v48, v130, v131, v48                            // 000000020924: D1D30030 04C30782
	v_max3_f32 v48, v132, v133, v48                            // 00000002092C: D1D30030 04C30B84
	v_max3_f32 v48, v134, v135, v48                            // 000000020934: D1D30030 04C30F86
	v_max3_f32 v48, v136, v137, v48                            // 00000002093C: D1D30030 04C31388
	v_max3_f32 v48, v138, v139, v48                            // 000000020944: D1D30030 04C3178A
	v_max3_f32 v48, v140, v141, v48                            // 00000002094C: D1D30030 04C31B8C
	v_max3_f32 v48, v142, v143, v48                            // 000000020954: D1D30030 04C31F8E
	ds_write_b32 v8, v48 offset:16896                          // 00000002095C: D81A4200 00003008
	v_mul_f32_e32 v216, v50, v216                              // 000000020964: 0BB1B132
	v_mul_f32_e32 v217, v50, v217                              // 000000020968: 0BB3B332
	v_mul_f32_e32 v218, v50, v218                              // 00000002096C: 0BB5B532
	v_mul_f32_e32 v219, v50, v219                              // 000000020970: 0BB7B732
	v_mul_f32_e32 v220, v50, v220                              // 000000020974: 0BB9B932
	v_mul_f32_e32 v221, v50, v221                              // 000000020978: 0BBBBB32
	v_mul_f32_e32 v222, v50, v222                              // 00000002097C: 0BBDBD32
	v_mul_f32_e32 v223, v50, v223                              // 000000020980: 0BBFBF32
	s_waitcnt lgkmcnt(0)                                       // 000000020984: BF8CC07F
	s_barrier                                                  // 000000020988: BF8A0000
	ds_read_b32 v64, v7 offset:16896                           // 00000002098C: D86C4200 40000007
	ds_read_b32 v65, v7 offset:16960                           // 000000020994: D86C4240 41000007
	ds_read_b32 v66, v7 offset:17024                           // 00000002099C: D86C4280 42000007
	ds_read_b32 v67, v7 offset:17088                           // 0000000209A4: D86C42C0 43000007
	ds_read_b32 v68, v7 offset:17152                           // 0000000209AC: D86C4300 44000007
	ds_read_b32 v69, v7 offset:17216                           // 0000000209B4: D86C4340 45000007
	ds_read_b32 v70, v7 offset:17280                           // 0000000209BC: D86C4380 46000007
	ds_read_b32 v71, v7 offset:17344                           // 0000000209C4: D86C43C0 47000007
	ds_read_b32 v72, v7 offset:17408                           // 0000000209CC: D86C4400 48000007
	ds_read_b32 v73, v7 offset:17472                           // 0000000209D4: D86C4440 49000007
	ds_read_b32 v74, v7 offset:17536                           // 0000000209DC: D86C4480 4A000007
	ds_read_b32 v75, v7 offset:17600                           // 0000000209E4: D86C44C0 4B000007
	ds_read_b32 v76, v7 offset:17664                           // 0000000209EC: D86C4500 4C000007
	ds_read_b32 v77, v7 offset:17728                           // 0000000209F4: D86C4540 4D000007
	ds_read_b32 v78, v7 offset:17792                           // 0000000209FC: D86C4580 4E000007
	ds_read_b32 v79, v7 offset:17856                           // 000000020A04: D86C45C0 4F000007
	v_mul_f32_e32 v184, v45, v184                              // 000000020A0C: 0B71712D
	v_mul_f32_e32 v185, v45, v185                              // 000000020A10: 0B73732D
	v_mul_f32_e32 v186, v45, v186                              // 000000020A14: 0B75752D
	v_mul_f32_e32 v187, v45, v187                              // 000000020A18: 0B77772D
	v_mul_f32_e32 v188, v45, v188                              // 000000020A1C: 0B79792D
	v_mul_f32_e32 v189, v45, v189                              // 000000020A20: 0B7B7B2D
	v_mul_f32_e32 v190, v45, v190                              // 000000020A24: 0B7D7D2D
	v_mul_f32_e32 v191, v45, v191                              // 000000020A28: 0B7F7F2D
	s_waitcnt lgkmcnt(0)                                       // 000000020A2C: BF8CC07F
	v_max3_f32 v48, v64, v65, v48                              // 000000020A30: D1D30030 04C28340
	v_max3_f32 v48, v66, v67, v48                              // 000000020A38: D1D30030 04C28742
	v_max3_f32 v48, v68, v69, v48                              // 000000020A40: D1D30030 04C28B44
	v_max3_f32 v48, v70, v71, v48                              // 000000020A48: D1D30030 04C28F46
	v_max3_f32 v48, v72, v73, v48                              // 000000020A50: D1D30030 04C29348
	v_max3_f32 v48, v74, v75, v48                              // 000000020A58: D1D30030 04C2974A
	v_max3_f32 v48, v76, v77, v48                              // 000000020A60: D1D30030 04C29B4C
	v_max3_f32 v48, v78, v79, v48                              // 000000020A68: D1D30030 04C29F4E
	v_mov_b32_e32 v64, 0xff800000                              // 000000020A70: 7E8002FF FF800000
	v_cmp_eq_u32_e64 s[40:41], v64, v12                        // 000000020A78: D0CA0028 00021940
	s_nop 1                                                    // 000000020A80: BF800001
	v_max_f32_e32 v15, v48, v12                                // 000000020A84: 161E1930
	v_mul_f32_e32 v53, s64, v15                                // 000000020A88: 0A6A1E40
	v_fma_f32 v128, v128, s64, -v53                            // 000000020A8C: D1CB0080 84D48180
	v_fma_f32 v129, v129, s64, -v53                            // 000000020A94: D1CB0081 84D48181
	v_fma_f32 v130, v130, s64, -v53                            // 000000020A9C: D1CB0082 84D48182
	v_fma_f32 v131, v131, s64, -v53                            // 000000020AA4: D1CB0083 84D48183
	v_fma_f32 v132, v132, s64, -v53                            // 000000020AAC: D1CB0084 84D48184
	v_fma_f32 v133, v133, s64, -v53                            // 000000020AB4: D1CB0085 84D48185
	v_fma_f32 v134, v134, s64, -v53                            // 000000020ABC: D1CB0086 84D48186
	v_fma_f32 v135, v135, s64, -v53                            // 000000020AC4: D1CB0087 84D48187
	v_fma_f32 v136, v136, s64, -v53                            // 000000020ACC: D1CB0088 84D48188
	v_fma_f32 v137, v137, s64, -v53                            // 000000020AD4: D1CB0089 84D48189
	v_fma_f32 v138, v138, s64, -v53                            // 000000020ADC: D1CB008A 84D4818A
	v_fma_f32 v139, v139, s64, -v53                            // 000000020AE4: D1CB008B 84D4818B
	v_fma_f32 v140, v140, s64, -v53                            // 000000020AEC: D1CB008C 84D4818C
	v_fma_f32 v141, v141, s64, -v53                            // 000000020AF4: D1CB008D 84D4818D
	v_fma_f32 v142, v142, s64, -v53                            // 000000020AFC: D1CB008E 84D4818E
	v_fma_f32 v143, v143, s64, -v53                            // 000000020B04: D1CB008F 84D4818F
	v_exp_f32_e32 v128, v128                                   // 000000020B0C: 7F004180
	v_exp_f32_e32 v129, v129                                   // 000000020B10: 7F024181
	v_exp_f32_e32 v130, v130                                   // 000000020B14: 7F044182
	v_exp_f32_e32 v131, v131                                   // 000000020B18: 7F064183
	v_exp_f32_e32 v132, v132                                   // 000000020B1C: 7F084184
	v_exp_f32_e32 v133, v133                                   // 000000020B20: 7F0A4185
	v_exp_f32_e32 v134, v134                                   // 000000020B24: 7F0C4186
	v_exp_f32_e32 v135, v135                                   // 000000020B28: 7F0E4187
	v_exp_f32_e32 v136, v136                                   // 000000020B2C: 7F104188
	v_exp_f32_e32 v137, v137                                   // 000000020B30: 7F124189
	v_exp_f32_e32 v138, v138                                   // 000000020B34: 7F14418A
	v_exp_f32_e32 v139, v139                                   // 000000020B38: 7F16418B
	v_exp_f32_e32 v140, v140                                   // 000000020B3C: 7F18418C
	v_exp_f32_e32 v141, v141                                   // 000000020B40: 7F1A418D
	v_exp_f32_e32 v142, v142                                   // 000000020B44: 7F1C418E
	v_exp_f32_e32 v143, v143                                   // 000000020B48: 7F1E418F
	v_mul_f32_dpp v240, v252, v128 quad_perm:[0,0,0,0] row_mask:0xf bank_mask:0xf// 000000020B4C: 0BE100FA FF0000FC
	v_mul_f32_dpp v241, v252, v129 quad_perm:[1,1,1,1] row_mask:0xf bank_mask:0xf// 000000020B54: 0BE302FA FF0055FC
	v_mul_f32_dpp v242, v252, v130 quad_perm:[2,2,2,2] row_mask:0xf bank_mask:0xf// 000000020B5C: 0BE504FA FF00AAFC
	v_mul_f32_dpp v243, v252, v131 quad_perm:[3,3,3,3] row_mask:0xf bank_mask:0xf// 000000020B64: 0BE706FA FF00FFFC
	v_mul_f32_dpp v244, v253, v132 quad_perm:[0,0,0,0] row_mask:0xf bank_mask:0xf// 000000020B6C: 0BE908FA FF0000FD
	v_mul_f32_dpp v245, v253, v133 quad_perm:[1,1,1,1] row_mask:0xf bank_mask:0xf// 000000020B74: 0BEB0AFA FF0055FD
	v_mul_f32_dpp v246, v253, v134 quad_perm:[2,2,2,2] row_mask:0xf bank_mask:0xf// 000000020B7C: 0BED0CFA FF00AAFD
	v_mul_f32_dpp v247, v253, v135 quad_perm:[3,3,3,3] row_mask:0xf bank_mask:0xf// 000000020B84: 0BEF0EFA FF00FFFD
	v_mul_f32_dpp v248, v254, v136 quad_perm:[0,0,0,0] row_mask:0xf bank_mask:0xf// 000000020B8C: 0BF110FA FF0000FE
	v_mul_f32_dpp v249, v254, v137 quad_perm:[1,1,1,1] row_mask:0xf bank_mask:0xf// 000000020B94: 0BF312FA FF0055FE
	v_mul_f32_dpp v250, v254, v138 quad_perm:[2,2,2,2] row_mask:0xf bank_mask:0xf// 000000020B9C: 0BF514FA FF00AAFE
	v_mul_f32_dpp v251, v254, v139 quad_perm:[3,3,3,3] row_mask:0xf bank_mask:0xf// 000000020BA4: 0BF716FA FF00FFFE
	v_mul_f32_dpp v252, v255, v140 quad_perm:[0,0,0,0] row_mask:0xf bank_mask:0xf// 000000020BAC: 0BF918FA FF0000FF
	v_mul_f32_dpp v253, v255, v141 quad_perm:[1,1,1,1] row_mask:0xf bank_mask:0xf// 000000020BB4: 0BFB1AFA FF0055FF
	v_mul_f32_dpp v254, v255, v142 quad_perm:[2,2,2,2] row_mask:0xf bank_mask:0xf// 000000020BBC: 0BFD1CFA FF00AAFF
	v_mul_f32_dpp v255, v255, v143 quad_perm:[3,3,3,3] row_mask:0xf bank_mask:0xf// 000000020BC4: 0BFF1EFA FF00FFFF
	v_mov_b32_e32 v48, 0x358637bd                              // 000000020BCC: 7E6002FF 358637BD
	v_max3_f32 v48, |v240|, |v241|, v48                        // 000000020BD4: D1D30330 04C3E3F0
	v_max3_f32 v48, |v242|, |v243|, v48                        // 000000020BDC: D1D30330 04C3E7F2
	v_max3_f32 v48, |v244|, |v245|, v48                        // 000000020BE4: D1D30330 04C3EBF4
	v_max3_f32 v48, |v246|, |v247|, v48                        // 000000020BEC: D1D30330 04C3EFF6
	v_max3_f32 v48, |v248|, |v249|, v48                        // 000000020BF4: D1D30330 04C3F3F8
	v_max3_f32 v48, |v250|, |v251|, v48                        // 000000020BFC: D1D30330 04C3F7FA
	v_max3_f32 v48, |v252|, |v253|, v48                        // 000000020C04: D1D30330 04C3FBFC
	v_max3_f32 v48, |v254|, |v255|, v48                        // 000000020C0C: D1D30330 04C3FFFE
	ds_write_b32 v8, v48 offset:20992                          // 000000020C14: D81A5200 00003008
	v_sub_f32_e32 v50, v12, v15                                // 000000020C1C: 04641F0C
	v_cndmask_b32_e64 v50, v50, 0, s[40:41]                    // 000000020C20: D1000032 00A10132
	v_mov_b32_e32 v12, v15                                     // 000000020C28: 7E18030F
	v_mul_f32_e32 v50, s64, v50                                // 000000020C2C: 0A646440
	v_exp_f32_e32 v50, v50                                     // 000000020C30: 7E644132
	s_waitcnt lgkmcnt(0)                                       // 000000020C34: BF8CC07F
	s_barrier                                                  // 000000020C38: BF8A0000
	ds_read_b32 v64, v7 offset:20992                           // 000000020C3C: D86C5200 40000007
	ds_read_b32 v65, v7 offset:21056                           // 000000020C44: D86C5240 41000007
	ds_read_b32 v66, v7 offset:21120                           // 000000020C4C: D86C5280 42000007
	ds_read_b32 v67, v7 offset:21184                           // 000000020C54: D86C52C0 43000007
	ds_read_b32 v68, v7 offset:21248                           // 000000020C5C: D86C5300 44000007
	ds_read_b32 v69, v7 offset:21312                           // 000000020C64: D86C5340 45000007
	ds_read_b32 v70, v7 offset:21376                           // 000000020C6C: D86C5380 46000007
	ds_read_b32 v71, v7 offset:21440                           // 000000020C74: D86C53C0 47000007
	ds_read_b32 v72, v7 offset:21504                           // 000000020C7C: D86C5400 48000007
	ds_read_b32 v73, v7 offset:21568                           // 000000020C84: D86C5440 49000007
	ds_read_b32 v74, v7 offset:21632                           // 000000020C8C: D86C5480 4A000007
	ds_read_b32 v75, v7 offset:21696                           // 000000020C94: D86C54C0 4B000007
	ds_read_b32 v76, v7 offset:21760                           // 000000020C9C: D86C5500 4C000007
	ds_read_b32 v77, v7 offset:21824                           // 000000020CA4: D86C5540 4D000007
	ds_read_b32 v78, v7 offset:21888                           // 000000020CAC: D86C5580 4E000007
	ds_read_b32 v79, v7 offset:21952                           // 000000020CB4: D86C55C0 4F000007
	v_mul_f32_e32 v39, v50, v39                                // 000000020CBC: 0A4E4F32
	v_mov_b32_e32 v15, v128                                    // 000000020CC0: 7E1E0380
	v_add_f32_e32 v15, v129, v15                               // 000000020CC4: 021E1F81
	v_add_f32_e32 v15, v130, v15                               // 000000020CC8: 021E1F82
	v_add_f32_e32 v15, v131, v15                               // 000000020CCC: 021E1F83
	v_add_f32_e32 v15, v132, v15                               // 000000020CD0: 021E1F84
	v_add_f32_e32 v15, v133, v15                               // 000000020CD4: 021E1F85
	v_add_f32_e32 v15, v134, v15                               // 000000020CD8: 021E1F86
	v_add_f32_e32 v15, v135, v15                               // 000000020CDC: 021E1F87
	v_add_f32_e32 v15, v136, v15                               // 000000020CE0: 021E1F88
	v_add_f32_e32 v15, v137, v15                               // 000000020CE4: 021E1F89
	v_add_f32_e32 v15, v138, v15                               // 000000020CE8: 021E1F8A
	v_add_f32_e32 v15, v139, v15                               // 000000020CEC: 021E1F8B
	v_add_f32_e32 v15, v140, v15                               // 000000020CF0: 021E1F8C
	v_add_f32_e32 v15, v141, v15                               // 000000020CF4: 021E1F8D
	v_add_f32_e32 v15, v142, v15                               // 000000020CF8: 021E1F8E
	v_add_f32_e32 v15, v143, v15                               // 000000020CFC: 021E1F8F
	v_add_f32_e32 v39, v15, v39                                // 000000020D00: 024E4F0F
	s_waitcnt lgkmcnt(0)                                       // 000000020D04: BF8CC07F
	v_max3_f32 v48, |v64|, |v65|, v48                          // 000000020D08: D1D30330 04C28340
	v_max3_f32 v48, |v66|, |v67|, v48                          // 000000020D10: D1D30330 04C28742
	v_max3_f32 v48, |v68|, |v69|, v48                          // 000000020D18: D1D30330 04C28B44
	v_max3_f32 v48, |v70|, |v71|, v48                          // 000000020D20: D1D30330 04C28F46
	v_max3_f32 v48, |v72|, |v73|, v48                          // 000000020D28: D1D30330 04C29348
	v_max3_f32 v48, |v74|, |v75|, v48                          // 000000020D30: D1D30330 04C2974A
	v_max3_f32 v48, |v76|, |v77|, v48                          // 000000020D38: D1D30330 04C29B4C
	v_max3_f32 v48, |v78|, |v79|, v48                          // 000000020D40: D1D30330 04C29F4E
	s_nop 2                                                    // 000000020D48: BF800002
	v_rcp_f32_e32 v48, v48                                     // 000000020D4C: 7E604530
	s_nop 1                                                    // 000000020D50: BF800001
	v_mul_f32_e32 v48, 0x43e00000, v48                         // 000000020D54: 0A6060FF 43E00000
	v_mul_f32_e32 v128, v48, v240                              // 000000020D5C: 0B01E130
	v_mul_f32_e32 v129, v48, v241                              // 000000020D60: 0B03E330
	v_mul_f32_e32 v130, v48, v242                              // 000000020D64: 0B05E530
	v_mul_f32_e32 v131, v48, v243                              // 000000020D68: 0B07E730
	v_mul_f32_e32 v132, v48, v244                              // 000000020D6C: 0B09E930
	v_mul_f32_e32 v133, v48, v245                              // 000000020D70: 0B0BEB30
	v_mul_f32_e32 v134, v48, v246                              // 000000020D74: 0B0DED30
	v_mul_f32_e32 v135, v48, v247                              // 000000020D78: 0B0FEF30
	v_mul_f32_e32 v136, v48, v248                              // 000000020D7C: 0B11F130
	v_mul_f32_e32 v137, v48, v249                              // 000000020D80: 0B13F330
	v_mul_f32_e32 v138, v48, v250                              // 000000020D84: 0B15F530
	v_mul_f32_e32 v139, v48, v251                              // 000000020D88: 0B17F730
	v_mul_f32_e32 v140, v48, v252                              // 000000020D8C: 0B19F930
	v_mul_f32_e32 v141, v48, v253                              // 000000020D90: 0B1BFB30
	v_mul_f32_e32 v142, v48, v254                              // 000000020D94: 0B1DFD30
	v_mul_f32_e32 v143, v48, v255                              // 000000020D98: 0B1FFF30
	v_cvt_pk_fp8_f32 v128, v128, v129                          // 000000020D9C: D2A20080 00030380
	v_cvt_pk_fp8_f32 v128, v130, v131 op_sel:[0,0,1]           // 000000020DA4: D2A24080 00030782
	v_cvt_pk_fp8_f32 v129, v132, v133                          // 000000020DAC: D2A20081 00030B84
	v_cvt_pk_fp8_f32 v129, v134, v135 op_sel:[0,0,1]           // 000000020DB4: D2A24081 00030F86
	v_cvt_pk_fp8_f32 v130, v136, v137                          // 000000020DBC: D2A20082 00031388
	v_cvt_pk_fp8_f32 v130, v138, v139 op_sel:[0,0,1]           // 000000020DC4: D2A24082 0003178A
	v_cvt_pk_fp8_f32 v131, v140, v141                          // 000000020DCC: D2A20083 00031B8C
	v_cvt_pk_fp8_f32 v131, v142, v143 op_sel:[0,0,1]           // 000000020DD4: D2A24083 00031F8E
	ds_write_b32 v10, v128 offset:29184                        // 000000020DDC: D81A7200 0000800A
	ds_write_b32 v10, v129 offset:30208                        // 000000020DE4: D81A7600 0000810A
	ds_write_b32 v10, v130 offset:31232                        // 000000020DEC: D81A7A00 0000820A
	ds_write_b32 v10, v131 offset:32256                        // 000000020DF4: D81A7E00 0000830A
	v_add_f32_e32 v216, v216, v184                             // 000000020DFC: 03B171D8
	v_add_f32_e32 v217, v217, v185                             // 000000020E00: 03B373D9
	v_add_f32_e32 v218, v218, v186                             // 000000020E04: 03B575DA
	v_add_f32_e32 v219, v219, v187                             // 000000020E08: 03B777DB
	v_add_f32_e32 v220, v220, v188                             // 000000020E0C: 03B979DC
	v_add_f32_e32 v221, v221, v189                             // 000000020E10: 03BB7BDD
	v_add_f32_e32 v222, v222, v190                             // 000000020E14: 03BD7DDE
	v_add_f32_e32 v223, v223, v191                             // 000000020E18: 03BF7FDF
	v_rcp_f32_e32 v45, v48                                     // 000000020E1C: 7E5A4530
	s_waitcnt lgkmcnt(0)                                       // 000000020E20: BF8CC07F
	s_barrier                                                  // 000000020E24: BF8A0000
	ds_read_b64 v[128:129], v9 offset:29184                    // 000000020E28: D8EC7200 80000009
	ds_read_b64 v[130:131], v9 offset:29312                    // 000000020E30: D8EC7280 82000009
	ds_read_b64 v[132:133], v9 offset:30208                    // 000000020E38: D8EC7600 84000009
	ds_read_b64 v[134:135], v9 offset:30336                    // 000000020E40: D8EC7680 86000009
	ds_read_b64 v[136:137], v9 offset:31232                    // 000000020E48: D8EC7A00 88000009
	ds_read_b64 v[138:139], v9 offset:31360                    // 000000020E50: D8EC7A80 8A000009
	ds_read_b64 v[140:141], v9 offset:32256                    // 000000020E58: D8EC7E00 8C000009
	ds_read_b64 v[142:143], v9 offset:32384                    // 000000020E60: D8EC7E80 8E000009
	v_mov_b32_dpp v64, v43 row_shr:4 row_mask:0xf bank_mask:0xf// 000000020E68: 7E8002FA FF01142B
	v_mov_b32_dpp v65, v43 row_shl:4 row_mask:0xf bank_mask:0xf// 000000020E70: 7E8202FA FF01042B
	v_cndmask_b32_e64 v248, v43, v64, s[44:45]                 // 000000020E78: D10000F8 00B2812B
	v_cndmask_b32_e64 v249, v65, v43, s[44:45]                 // 000000020E80: D10000F9 00B25741
	v_mov_b32_dpp v64, v248 row_shr:8 row_mask:0xf bank_mask:0xf// 000000020E88: 7E8002FA FF0118F8
	v_mov_b32_dpp v65, v248 row_shl:8 row_mask:0xf bank_mask:0xf// 000000020E90: 7E8202FA FF0108F8
	v_mov_b32_dpp v66, v249 row_shr:8 row_mask:0xf bank_mask:0xf// 000000020E98: 7E8402FA FF0118F9
	v_mov_b32_dpp v67, v249 row_shl:8 row_mask:0xf bank_mask:0xf// 000000020EA0: 7E8602FA FF0108F9
	v_mov_b32_e32 v68, v248                                    // 000000020EA8: 7E8803F8
	v_mov_b32_e32 v69, v249                                    // 000000020EAC: 7E8A03F9
	v_cndmask_b32_e64 v248, v68, v64, s[42:43]                 // 000000020EB0: D10000F8 00AA8144
	v_cndmask_b32_e64 v250, v68, v65, s[78:79]                 // 000000020EB8: D10000FA 013A8344
	v_cndmask_b32_e64 v249, v69, v66, s[42:43]                 // 000000020EC0: D10000F9 00AA8545
	v_cndmask_b32_e64 v251, v69, v67, s[78:79]                 // 000000020EC8: D10000FB 013A8745
	v_mov_b32_dpp v64, v58 row_shr:4 row_mask:0xf bank_mask:0xf// 000000020ED0: 7E8002FA FF01143A
	v_mov_b32_dpp v65, v58 row_shl:4 row_mask:0xf bank_mask:0xf// 000000020ED8: 7E8202FA FF01043A
	v_cndmask_b32_e64 v252, v58, v64, s[44:45]                 // 000000020EE0: D10000FC 00B2813A
	v_cndmask_b32_e64 v253, v65, v58, s[44:45]                 // 000000020EE8: D10000FD 00B27541
	v_mov_b32_dpp v64, v252 row_shr:8 row_mask:0xf bank_mask:0xf// 000000020EF0: 7E8002FA FF0118FC
	v_mov_b32_dpp v65, v252 row_shl:8 row_mask:0xf bank_mask:0xf// 000000020EF8: 7E8202FA FF0108FC
	v_mov_b32_dpp v66, v253 row_shr:8 row_mask:0xf bank_mask:0xf// 000000020F00: 7E8402FA FF0118FD
	v_mov_b32_dpp v67, v253 row_shl:8 row_mask:0xf bank_mask:0xf// 000000020F08: 7E8602FA FF0108FD
	v_mov_b32_e32 v68, v252                                    // 000000020F10: 7E8803FC
	v_mov_b32_e32 v69, v253                                    // 000000020F14: 7E8A03FD
	v_cndmask_b32_e64 v252, v68, v64, s[42:43]                 // 000000020F18: D10000FC 00AA8144
	v_cndmask_b32_e64 v254, v68, v65, s[78:79]                 // 000000020F20: D10000FE 013A8344
	v_cndmask_b32_e64 v253, v69, v66, s[42:43]                 // 000000020F28: D10000FD 00AA8545
	v_cndmask_b32_e64 v255, v69, v67, s[78:79]                 // 000000020F30: D10000FF 013A8745
	v_mul_f32_e32 v144, v20, v144                              // 000000020F38: 0B212114
	v_mul_f32_e32 v145, v20, v145                              // 000000020F3C: 0B232314
	v_mul_f32_e32 v146, v20, v146                              // 000000020F40: 0B252514
	v_mul_f32_e32 v147, v20, v147                              // 000000020F44: 0B272714
	v_mul_f32_e32 v148, v20, v148                              // 000000020F48: 0B292914
	v_mul_f32_e32 v149, v20, v149                              // 000000020F4C: 0B2B2B14
	v_mul_f32_e32 v150, v20, v150                              // 000000020F50: 0B2D2D14
	v_mul_f32_e32 v151, v20, v151                              // 000000020F54: 0B2F2F14
	v_mul_f32_e32 v152, v20, v152                              // 000000020F58: 0B313114
	v_mul_f32_e32 v153, v20, v153                              // 000000020F5C: 0B333314
	v_mul_f32_e32 v154, v20, v154                              // 000000020F60: 0B353514
	v_mul_f32_e32 v155, v20, v155                              // 000000020F64: 0B373714
	v_mul_f32_e32 v156, v20, v156                              // 000000020F68: 0B393914
	v_mul_f32_e32 v157, v20, v157                              // 000000020F6C: 0B3B3B14
	v_mul_f32_e32 v158, v20, v158                              // 000000020F70: 0B3D3D14
	v_mul_f32_e32 v159, v20, v159                              // 000000020F74: 0B3F3F14
	v_mul_f32_dpp v144, v248, v144 quad_perm:[0,0,0,0] row_mask:0xf bank_mask:0xf// 000000020F78: 0B2120FA FF0000F8
	v_mul_f32_dpp v145, v248, v145 quad_perm:[1,1,1,1] row_mask:0xf bank_mask:0xf// 000000020F80: 0B2322FA FF0055F8
	v_mul_f32_dpp v146, v248, v146 quad_perm:[2,2,2,2] row_mask:0xf bank_mask:0xf// 000000020F88: 0B2524FA FF00AAF8
	v_mul_f32_dpp v147, v248, v147 quad_perm:[3,3,3,3] row_mask:0xf bank_mask:0xf// 000000020F90: 0B2726FA FF00FFF8
	v_mul_f32_dpp v148, v249, v148 quad_perm:[0,0,0,0] row_mask:0xf bank_mask:0xf// 000000020F98: 0B2928FA FF0000F9
	v_mul_f32_dpp v149, v249, v149 quad_perm:[1,1,1,1] row_mask:0xf bank_mask:0xf// 000000020FA0: 0B2B2AFA FF0055F9
	v_mul_f32_dpp v150, v249, v150 quad_perm:[2,2,2,2] row_mask:0xf bank_mask:0xf// 000000020FA8: 0B2D2CFA FF00AAF9
	v_mul_f32_dpp v151, v249, v151 quad_perm:[3,3,3,3] row_mask:0xf bank_mask:0xf// 000000020FB0: 0B2F2EFA FF00FFF9
	v_mul_f32_dpp v152, v250, v152 quad_perm:[0,0,0,0] row_mask:0xf bank_mask:0xf// 000000020FB8: 0B3130FA FF0000FA
	v_mul_f32_dpp v153, v250, v153 quad_perm:[1,1,1,1] row_mask:0xf bank_mask:0xf// 000000020FC0: 0B3332FA FF0055FA
	v_mul_f32_dpp v154, v250, v154 quad_perm:[2,2,2,2] row_mask:0xf bank_mask:0xf// 000000020FC8: 0B3534FA FF00AAFA
	v_mul_f32_dpp v155, v250, v155 quad_perm:[3,3,3,3] row_mask:0xf bank_mask:0xf// 000000020FD0: 0B3736FA FF00FFFA
	v_mul_f32_dpp v156, v251, v156 quad_perm:[0,0,0,0] row_mask:0xf bank_mask:0xf// 000000020FD8: 0B3938FA FF0000FB
	v_mul_f32_dpp v157, v251, v157 quad_perm:[1,1,1,1] row_mask:0xf bank_mask:0xf// 000000020FE0: 0B3B3AFA FF0055FB
	v_mul_f32_dpp v158, v251, v158 quad_perm:[2,2,2,2] row_mask:0xf bank_mask:0xf// 000000020FE8: 0B3D3CFA FF00AAFB
	v_mul_f32_dpp v159, v251, v159 quad_perm:[3,3,3,3] row_mask:0xf bank_mask:0xf// 000000020FF0: 0B3F3EFA FF00FFFB
	v_mov_b32_e32 v48, v144                                    // 000000020FF8: 7E600390
	v_max3_f32 v48, v144, v145, v48                            // 000000020FFC: D1D30030 04C32390
	v_max3_f32 v48, v146, v147, v48                            // 000000021004: D1D30030 04C32792
	v_max3_f32 v48, v148, v149, v48                            // 00000002100C: D1D30030 04C32B94
	v_max3_f32 v48, v150, v151, v48                            // 000000021014: D1D30030 04C32F96
	v_max3_f32 v48, v152, v153, v48                            // 00000002101C: D1D30030 04C33398
	v_max3_f32 v48, v154, v155, v48                            // 000000021024: D1D30030 04C3379A
	v_max3_f32 v48, v156, v157, v48                            // 00000002102C: D1D30030 04C33B9C
	v_max3_f32 v48, v158, v159, v48                            // 000000021034: D1D30030 04C33F9E
	ds_write_b32 v8, v48 offset:16896                          // 00000002103C: D81A4200 00003008
	v_mul_f32_e32 v224, v51, v224                              // 000000021044: 0BC1C133
	v_mul_f32_e32 v225, v51, v225                              // 000000021048: 0BC3C333
	v_mul_f32_e32 v226, v51, v226                              // 00000002104C: 0BC5C533
	v_mul_f32_e32 v227, v51, v227                              // 000000021050: 0BC7C733
	v_mul_f32_e32 v228, v51, v228                              // 000000021054: 0BC9C933
	v_mul_f32_e32 v229, v51, v229                              // 000000021058: 0BCBCB33
	v_mul_f32_e32 v230, v51, v230                              // 00000002105C: 0BCDCD33
	v_mul_f32_e32 v231, v51, v231                              // 000000021060: 0BCFCF33
	s_waitcnt lgkmcnt(0)                                       // 000000021064: BF8CC07F
	s_barrier                                                  // 000000021068: BF8A0000
	ds_read_b32 v64, v7 offset:16896                           // 00000002106C: D86C4200 40000007
	ds_read_b32 v65, v7 offset:16960                           // 000000021074: D86C4240 41000007
	ds_read_b32 v66, v7 offset:17024                           // 00000002107C: D86C4280 42000007
	ds_read_b32 v67, v7 offset:17088                           // 000000021084: D86C42C0 43000007
	ds_read_b32 v68, v7 offset:17152                           // 00000002108C: D86C4300 44000007
	ds_read_b32 v69, v7 offset:17216                           // 000000021094: D86C4340 45000007
	ds_read_b32 v70, v7 offset:17280                           // 00000002109C: D86C4380 46000007
	ds_read_b32 v71, v7 offset:17344                           // 0000000210A4: D86C43C0 47000007
	ds_read_b32 v72, v7 offset:17408                           // 0000000210AC: D86C4400 48000007
	ds_read_b32 v73, v7 offset:17472                           // 0000000210B4: D86C4440 49000007
	ds_read_b32 v74, v7 offset:17536                           // 0000000210BC: D86C4480 4A000007
	ds_read_b32 v75, v7 offset:17600                           // 0000000210C4: D86C44C0 4B000007
	ds_read_b32 v76, v7 offset:17664                           // 0000000210CC: D86C4500 4C000007
	ds_read_b32 v77, v7 offset:17728                           // 0000000210D4: D86C4540 4D000007
	ds_read_b32 v78, v7 offset:17792                           // 0000000210DC: D86C4580 4E000007
	ds_read_b32 v79, v7 offset:17856                           // 0000000210E4: D86C45C0 4F000007
	v_mul_f32_e32 v192, v46, v192                              // 0000000210EC: 0B81812E
	v_mul_f32_e32 v193, v46, v193                              // 0000000210F0: 0B83832E
	v_mul_f32_e32 v194, v46, v194                              // 0000000210F4: 0B85852E
	v_mul_f32_e32 v195, v46, v195                              // 0000000210F8: 0B87872E
	v_mul_f32_e32 v196, v46, v196                              // 0000000210FC: 0B89892E
	v_mul_f32_e32 v197, v46, v197                              // 000000021100: 0B8B8B2E
	v_mul_f32_e32 v198, v46, v198                              // 000000021104: 0B8D8D2E
	v_mul_f32_e32 v199, v46, v199                              // 000000021108: 0B8F8F2E
	s_waitcnt lgkmcnt(0)                                       // 00000002110C: BF8CC07F
	v_max3_f32 v48, v64, v65, v48                              // 000000021110: D1D30030 04C28340
	v_max3_f32 v48, v66, v67, v48                              // 000000021118: D1D30030 04C28742
	v_max3_f32 v48, v68, v69, v48                              // 000000021120: D1D30030 04C28B44
	v_max3_f32 v48, v70, v71, v48                              // 000000021128: D1D30030 04C28F46
	v_max3_f32 v48, v72, v73, v48                              // 000000021130: D1D30030 04C29348
	v_max3_f32 v48, v74, v75, v48                              // 000000021138: D1D30030 04C2974A
	v_max3_f32 v48, v76, v77, v48                              // 000000021140: D1D30030 04C29B4C
	v_max3_f32 v48, v78, v79, v48                              // 000000021148: D1D30030 04C29F4E
	v_mov_b32_e32 v64, 0xff800000                              // 000000021150: 7E8002FF FF800000
	v_cmp_eq_u32_e64 s[40:41], v64, v13                        // 000000021158: D0CA0028 00021B40
	s_nop 1                                                    // 000000021160: BF800001
	v_max_f32_e32 v15, v48, v13                                // 000000021164: 161E1B30
	v_mul_f32_e32 v53, s64, v15                                // 000000021168: 0A6A1E40
	v_fma_f32 v144, v144, s64, -v53                            // 00000002116C: D1CB0090 84D48190
	v_fma_f32 v145, v145, s64, -v53                            // 000000021174: D1CB0091 84D48191
	v_fma_f32 v146, v146, s64, -v53                            // 00000002117C: D1CB0092 84D48192
	v_fma_f32 v147, v147, s64, -v53                            // 000000021184: D1CB0093 84D48193
	v_fma_f32 v148, v148, s64, -v53                            // 00000002118C: D1CB0094 84D48194
	v_fma_f32 v149, v149, s64, -v53                            // 000000021194: D1CB0095 84D48195
	v_fma_f32 v150, v150, s64, -v53                            // 00000002119C: D1CB0096 84D48196
	v_fma_f32 v151, v151, s64, -v53                            // 0000000211A4: D1CB0097 84D48197
	v_fma_f32 v152, v152, s64, -v53                            // 0000000211AC: D1CB0098 84D48198
	v_fma_f32 v153, v153, s64, -v53                            // 0000000211B4: D1CB0099 84D48199
	v_fma_f32 v154, v154, s64, -v53                            // 0000000211BC: D1CB009A 84D4819A
	v_fma_f32 v155, v155, s64, -v53                            // 0000000211C4: D1CB009B 84D4819B
	v_fma_f32 v156, v156, s64, -v53                            // 0000000211CC: D1CB009C 84D4819C
	v_fma_f32 v157, v157, s64, -v53                            // 0000000211D4: D1CB009D 84D4819D
	v_fma_f32 v158, v158, s64, -v53                            // 0000000211DC: D1CB009E 84D4819E
	v_fma_f32 v159, v159, s64, -v53                            // 0000000211E4: D1CB009F 84D4819F
	v_exp_f32_e32 v144, v144                                   // 0000000211EC: 7F204190
	v_exp_f32_e32 v145, v145                                   // 0000000211F0: 7F224191
	v_exp_f32_e32 v146, v146                                   // 0000000211F4: 7F244192
	v_exp_f32_e32 v147, v147                                   // 0000000211F8: 7F264193
	v_exp_f32_e32 v148, v148                                   // 0000000211FC: 7F284194
	v_exp_f32_e32 v149, v149                                   // 000000021200: 7F2A4195
	v_exp_f32_e32 v150, v150                                   // 000000021204: 7F2C4196
	v_exp_f32_e32 v151, v151                                   // 000000021208: 7F2E4197
	v_exp_f32_e32 v152, v152                                   // 00000002120C: 7F304198
	v_exp_f32_e32 v153, v153                                   // 000000021210: 7F324199
	v_exp_f32_e32 v154, v154                                   // 000000021214: 7F34419A
	v_exp_f32_e32 v155, v155                                   // 000000021218: 7F36419B
	v_exp_f32_e32 v156, v156                                   // 00000002121C: 7F38419C
	v_exp_f32_e32 v157, v157                                   // 000000021220: 7F3A419D
	v_exp_f32_e32 v158, v158                                   // 000000021224: 7F3C419E
	v_exp_f32_e32 v159, v159                                   // 000000021228: 7F3E419F
	v_mul_f32_dpp v240, v252, v144 quad_perm:[0,0,0,0] row_mask:0xf bank_mask:0xf// 00000002122C: 0BE120FA FF0000FC
	v_mul_f32_dpp v241, v252, v145 quad_perm:[1,1,1,1] row_mask:0xf bank_mask:0xf// 000000021234: 0BE322FA FF0055FC
	v_mul_f32_dpp v242, v252, v146 quad_perm:[2,2,2,2] row_mask:0xf bank_mask:0xf// 00000002123C: 0BE524FA FF00AAFC
	v_mul_f32_dpp v243, v252, v147 quad_perm:[3,3,3,3] row_mask:0xf bank_mask:0xf// 000000021244: 0BE726FA FF00FFFC
	v_mul_f32_dpp v244, v253, v148 quad_perm:[0,0,0,0] row_mask:0xf bank_mask:0xf// 00000002124C: 0BE928FA FF0000FD
	v_mul_f32_dpp v245, v253, v149 quad_perm:[1,1,1,1] row_mask:0xf bank_mask:0xf// 000000021254: 0BEB2AFA FF0055FD
	v_mul_f32_dpp v246, v253, v150 quad_perm:[2,2,2,2] row_mask:0xf bank_mask:0xf// 00000002125C: 0BED2CFA FF00AAFD
	v_mul_f32_dpp v247, v253, v151 quad_perm:[3,3,3,3] row_mask:0xf bank_mask:0xf// 000000021264: 0BEF2EFA FF00FFFD
	v_mul_f32_dpp v248, v254, v152 quad_perm:[0,0,0,0] row_mask:0xf bank_mask:0xf// 00000002126C: 0BF130FA FF0000FE
	v_mul_f32_dpp v249, v254, v153 quad_perm:[1,1,1,1] row_mask:0xf bank_mask:0xf// 000000021274: 0BF332FA FF0055FE
	v_mul_f32_dpp v250, v254, v154 quad_perm:[2,2,2,2] row_mask:0xf bank_mask:0xf// 00000002127C: 0BF534FA FF00AAFE
	v_mul_f32_dpp v251, v254, v155 quad_perm:[3,3,3,3] row_mask:0xf bank_mask:0xf// 000000021284: 0BF736FA FF00FFFE
	v_mul_f32_dpp v252, v255, v156 quad_perm:[0,0,0,0] row_mask:0xf bank_mask:0xf// 00000002128C: 0BF938FA FF0000FF
	v_mul_f32_dpp v253, v255, v157 quad_perm:[1,1,1,1] row_mask:0xf bank_mask:0xf// 000000021294: 0BFB3AFA FF0055FF
	v_mul_f32_dpp v254, v255, v158 quad_perm:[2,2,2,2] row_mask:0xf bank_mask:0xf// 00000002129C: 0BFD3CFA FF00AAFF
	v_mul_f32_dpp v255, v255, v159 quad_perm:[3,3,3,3] row_mask:0xf bank_mask:0xf// 0000000212A4: 0BFF3EFA FF00FFFF
	v_mov_b32_e32 v48, 0x358637bd                              // 0000000212AC: 7E6002FF 358637BD
	v_max3_f32 v48, |v240|, |v241|, v48                        // 0000000212B4: D1D30330 04C3E3F0
	v_max3_f32 v48, |v242|, |v243|, v48                        // 0000000212BC: D1D30330 04C3E7F2
	v_max3_f32 v48, |v244|, |v245|, v48                        // 0000000212C4: D1D30330 04C3EBF4
	v_max3_f32 v48, |v246|, |v247|, v48                        // 0000000212CC: D1D30330 04C3EFF6
	v_max3_f32 v48, |v248|, |v249|, v48                        // 0000000212D4: D1D30330 04C3F3F8
	v_max3_f32 v48, |v250|, |v251|, v48                        // 0000000212DC: D1D30330 04C3F7FA
	v_max3_f32 v48, |v252|, |v253|, v48                        // 0000000212E4: D1D30330 04C3FBFC
	v_max3_f32 v48, |v254|, |v255|, v48                        // 0000000212EC: D1D30330 04C3FFFE
	ds_write_b32 v8, v48 offset:20992                          // 0000000212F4: D81A5200 00003008
	v_sub_f32_e32 v51, v13, v15                                // 0000000212FC: 04661F0D
	v_cndmask_b32_e64 v51, v51, 0, s[40:41]                    // 000000021300: D1000033 00A10133
	v_mov_b32_e32 v13, v15                                     // 000000021308: 7E1A030F
	v_mul_f32_e32 v51, s64, v51                                // 00000002130C: 0A666640
	v_exp_f32_e32 v51, v51                                     // 000000021310: 7E664133
	s_waitcnt lgkmcnt(0)                                       // 000000021314: BF8CC07F
	s_barrier                                                  // 000000021318: BF8A0000
	ds_read_b32 v64, v7 offset:20992                           // 00000002131C: D86C5200 40000007
	ds_read_b32 v65, v7 offset:21056                           // 000000021324: D86C5240 41000007
	ds_read_b32 v66, v7 offset:21120                           // 00000002132C: D86C5280 42000007
	ds_read_b32 v67, v7 offset:21184                           // 000000021334: D86C52C0 43000007
	ds_read_b32 v68, v7 offset:21248                           // 00000002133C: D86C5300 44000007
	ds_read_b32 v69, v7 offset:21312                           // 000000021344: D86C5340 45000007
	ds_read_b32 v70, v7 offset:21376                           // 00000002134C: D86C5380 46000007
	ds_read_b32 v71, v7 offset:21440                           // 000000021354: D86C53C0 47000007
	ds_read_b32 v72, v7 offset:21504                           // 00000002135C: D86C5400 48000007
	ds_read_b32 v73, v7 offset:21568                           // 000000021364: D86C5440 49000007
	ds_read_b32 v74, v7 offset:21632                           // 00000002136C: D86C5480 4A000007
	ds_read_b32 v75, v7 offset:21696                           // 000000021374: D86C54C0 4B000007
	ds_read_b32 v76, v7 offset:21760                           // 00000002137C: D86C5500 4C000007
	ds_read_b32 v77, v7 offset:21824                           // 000000021384: D86C5540 4D000007
	ds_read_b32 v78, v7 offset:21888                           // 00000002138C: D86C5580 4E000007
	ds_read_b32 v79, v7 offset:21952                           // 000000021394: D86C55C0 4F000007
	v_mul_f32_e32 v40, v51, v40                                // 00000002139C: 0A505133
	v_mov_b32_e32 v15, v144                                    // 0000000213A0: 7E1E0390
	v_add_f32_e32 v15, v145, v15                               // 0000000213A4: 021E1F91
	v_add_f32_e32 v15, v146, v15                               // 0000000213A8: 021E1F92
	v_add_f32_e32 v15, v147, v15                               // 0000000213AC: 021E1F93
	v_add_f32_e32 v15, v148, v15                               // 0000000213B0: 021E1F94
	v_add_f32_e32 v15, v149, v15                               // 0000000213B4: 021E1F95
	v_add_f32_e32 v15, v150, v15                               // 0000000213B8: 021E1F96
	v_add_f32_e32 v15, v151, v15                               // 0000000213BC: 021E1F97
	v_add_f32_e32 v15, v152, v15                               // 0000000213C0: 021E1F98
	v_add_f32_e32 v15, v153, v15                               // 0000000213C4: 021E1F99
	v_add_f32_e32 v15, v154, v15                               // 0000000213C8: 021E1F9A
	v_add_f32_e32 v15, v155, v15                               // 0000000213CC: 021E1F9B
	v_add_f32_e32 v15, v156, v15                               // 0000000213D0: 021E1F9C
	v_add_f32_e32 v15, v157, v15                               // 0000000213D4: 021E1F9D
	v_add_f32_e32 v15, v158, v15                               // 0000000213D8: 021E1F9E
	v_add_f32_e32 v15, v159, v15                               // 0000000213DC: 021E1F9F
	v_add_f32_e32 v40, v15, v40                                // 0000000213E0: 0250510F
	s_waitcnt lgkmcnt(0)                                       // 0000000213E4: BF8CC07F
	v_max3_f32 v48, |v64|, |v65|, v48                          // 0000000213E8: D1D30330 04C28340
	v_max3_f32 v48, |v66|, |v67|, v48                          // 0000000213F0: D1D30330 04C28742
	v_max3_f32 v48, |v68|, |v69|, v48                          // 0000000213F8: D1D30330 04C28B44
	v_max3_f32 v48, |v70|, |v71|, v48                          // 000000021400: D1D30330 04C28F46
	v_max3_f32 v48, |v72|, |v73|, v48                          // 000000021408: D1D30330 04C29348
	v_max3_f32 v48, |v74|, |v75|, v48                          // 000000021410: D1D30330 04C2974A
	v_max3_f32 v48, |v76|, |v77|, v48                          // 000000021418: D1D30330 04C29B4C
	v_max3_f32 v48, |v78|, |v79|, v48                          // 000000021420: D1D30330 04C29F4E
	s_nop 2                                                    // 000000021428: BF800002
	v_rcp_f32_e32 v48, v48                                     // 00000002142C: 7E604530
	s_nop 1                                                    // 000000021430: BF800001
	v_mul_f32_e32 v48, 0x43e00000, v48                         // 000000021434: 0A6060FF 43E00000
	v_mul_f32_e32 v144, v48, v240                              // 00000002143C: 0B21E130
	v_mul_f32_e32 v145, v48, v241                              // 000000021440: 0B23E330
	v_mul_f32_e32 v146, v48, v242                              // 000000021444: 0B25E530
	v_mul_f32_e32 v147, v48, v243                              // 000000021448: 0B27E730
	v_mul_f32_e32 v148, v48, v244                              // 00000002144C: 0B29E930
	v_mul_f32_e32 v149, v48, v245                              // 000000021450: 0B2BEB30
	v_mul_f32_e32 v150, v48, v246                              // 000000021454: 0B2DED30
	v_mul_f32_e32 v151, v48, v247                              // 000000021458: 0B2FEF30
	v_mul_f32_e32 v152, v48, v248                              // 00000002145C: 0B31F130
	v_mul_f32_e32 v153, v48, v249                              // 000000021460: 0B33F330
	v_mul_f32_e32 v154, v48, v250                              // 000000021464: 0B35F530
	v_mul_f32_e32 v155, v48, v251                              // 000000021468: 0B37F730
	v_mul_f32_e32 v156, v48, v252                              // 00000002146C: 0B39F930
	v_mul_f32_e32 v157, v48, v253                              // 000000021470: 0B3BFB30
	v_mul_f32_e32 v158, v48, v254                              // 000000021474: 0B3DFD30
	v_mul_f32_e32 v159, v48, v255                              // 000000021478: 0B3FFF30
	v_cvt_pk_fp8_f32 v144, v144, v145                          // 00000002147C: D2A20090 00032390
	v_cvt_pk_fp8_f32 v144, v146, v147 op_sel:[0,0,1]           // 000000021484: D2A24090 00032792
	v_cvt_pk_fp8_f32 v145, v148, v149                          // 00000002148C: D2A20091 00032B94
	v_cvt_pk_fp8_f32 v145, v150, v151 op_sel:[0,0,1]           // 000000021494: D2A24091 00032F96
	v_cvt_pk_fp8_f32 v146, v152, v153                          // 00000002149C: D2A20092 00033398
	v_cvt_pk_fp8_f32 v146, v154, v155 op_sel:[0,0,1]           // 0000000214A4: D2A24092 0003379A
	v_cvt_pk_fp8_f32 v147, v156, v157                          // 0000000214AC: D2A20093 00033B9C
	v_cvt_pk_fp8_f32 v147, v158, v159 op_sel:[0,0,1]           // 0000000214B4: D2A24093 00033F9E
	ds_write_b32 v10, v144 offset:33280                        // 0000000214BC: D81A8200 0000900A
	ds_write_b32 v10, v145 offset:34304                        // 0000000214C4: D81A8600 0000910A
	ds_write_b32 v10, v146 offset:35328                        // 0000000214CC: D81A8A00 0000920A
	ds_write_b32 v10, v147 offset:36352                        // 0000000214D4: D81A8E00 0000930A
	v_add_f32_e32 v224, v224, v192                             // 0000000214DC: 03C181E0
	v_add_f32_e32 v225, v225, v193                             // 0000000214E0: 03C383E1
	v_add_f32_e32 v226, v226, v194                             // 0000000214E4: 03C585E2
	v_add_f32_e32 v227, v227, v195                             // 0000000214E8: 03C787E3
	v_add_f32_e32 v228, v228, v196                             // 0000000214EC: 03C989E4
	v_add_f32_e32 v229, v229, v197                             // 0000000214F0: 03CB8BE5
	v_add_f32_e32 v230, v230, v198                             // 0000000214F4: 03CD8DE6
	v_add_f32_e32 v231, v231, v199                             // 0000000214F8: 03CF8FE7
	v_rcp_f32_e32 v46, v48                                     // 0000000214FC: 7E5C4530
	s_waitcnt lgkmcnt(0)                                       // 000000021500: BF8CC07F
	s_barrier                                                  // 000000021504: BF8A0000
	ds_read_b64 v[144:145], v9 offset:33280                    // 000000021508: D8EC8200 90000009
	ds_read_b64 v[146:147], v9 offset:33408                    // 000000021510: D8EC8280 92000009
	ds_read_b64 v[148:149], v9 offset:34304                    // 000000021518: D8EC8600 94000009
	ds_read_b64 v[150:151], v9 offset:34432                    // 000000021520: D8EC8680 96000009
	ds_read_b64 v[152:153], v9 offset:35328                    // 000000021528: D8EC8A00 98000009
	ds_read_b64 v[154:155], v9 offset:35456                    // 000000021530: D8EC8A80 9A000009
	ds_read_b64 v[156:157], v9 offset:36352                    // 000000021538: D8EC8E00 9C000009
	ds_read_b64 v[158:159], v9 offset:36480                    // 000000021540: D8EC8E80 9E000009
	v_mov_b32_dpp v64, v43 row_shr:4 row_mask:0xf bank_mask:0xf// 000000021548: 7E8002FA FF01142B
	v_mov_b32_dpp v65, v43 row_shl:4 row_mask:0xf bank_mask:0xf// 000000021550: 7E8202FA FF01042B
	v_cndmask_b32_e64 v248, v43, v64, s[44:45]                 // 000000021558: D10000F8 00B2812B
	v_cndmask_b32_e64 v249, v65, v43, s[44:45]                 // 000000021560: D10000F9 00B25741
	v_mov_b32_dpp v64, v248 row_shr:8 row_mask:0xf bank_mask:0xf// 000000021568: 7E8002FA FF0118F8
	v_mov_b32_dpp v65, v248 row_shl:8 row_mask:0xf bank_mask:0xf// 000000021570: 7E8202FA FF0108F8
	v_mov_b32_dpp v66, v249 row_shr:8 row_mask:0xf bank_mask:0xf// 000000021578: 7E8402FA FF0118F9
	v_mov_b32_dpp v67, v249 row_shl:8 row_mask:0xf bank_mask:0xf// 000000021580: 7E8602FA FF0108F9
	v_mov_b32_e32 v68, v248                                    // 000000021588: 7E8803F8
	v_mov_b32_e32 v69, v249                                    // 00000002158C: 7E8A03F9
	v_cndmask_b32_e64 v248, v68, v64, s[42:43]                 // 000000021590: D10000F8 00AA8144
	v_cndmask_b32_e64 v250, v68, v65, s[78:79]                 // 000000021598: D10000FA 013A8344
	v_cndmask_b32_e64 v249, v69, v66, s[42:43]                 // 0000000215A0: D10000F9 00AA8545
	v_cndmask_b32_e64 v251, v69, v67, s[78:79]                 // 0000000215A8: D10000FB 013A8745
	v_mov_b32_dpp v64, v58 row_shr:4 row_mask:0xf bank_mask:0xf// 0000000215B0: 7E8002FA FF01143A
	v_mov_b32_dpp v65, v58 row_shl:4 row_mask:0xf bank_mask:0xf// 0000000215B8: 7E8202FA FF01043A
	v_cndmask_b32_e64 v252, v58, v64, s[44:45]                 // 0000000215C0: D10000FC 00B2813A
	v_cndmask_b32_e64 v253, v65, v58, s[44:45]                 // 0000000215C8: D10000FD 00B27541
	v_mov_b32_dpp v64, v252 row_shr:8 row_mask:0xf bank_mask:0xf// 0000000215D0: 7E8002FA FF0118FC
	v_mov_b32_dpp v65, v252 row_shl:8 row_mask:0xf bank_mask:0xf// 0000000215D8: 7E8202FA FF0108FC
	v_mov_b32_dpp v66, v253 row_shr:8 row_mask:0xf bank_mask:0xf// 0000000215E0: 7E8402FA FF0118FD
	v_mov_b32_dpp v67, v253 row_shl:8 row_mask:0xf bank_mask:0xf// 0000000215E8: 7E8602FA FF0108FD
	v_mov_b32_e32 v68, v252                                    // 0000000215F0: 7E8803FC
	v_mov_b32_e32 v69, v253                                    // 0000000215F4: 7E8A03FD
	v_cndmask_b32_e64 v252, v68, v64, s[42:43]                 // 0000000215F8: D10000FC 00AA8144
	v_cndmask_b32_e64 v254, v68, v65, s[78:79]                 // 000000021600: D10000FE 013A8344
	v_cndmask_b32_e64 v253, v69, v66, s[42:43]                 // 000000021608: D10000FD 00AA8545
	v_cndmask_b32_e64 v255, v69, v67, s[78:79]                 // 000000021610: D10000FF 013A8745
	v_mul_f32_e32 v160, v21, v160                              // 000000021618: 0B414115
	v_mul_f32_e32 v161, v21, v161                              // 00000002161C: 0B434315
	v_mul_f32_e32 v162, v21, v162                              // 000000021620: 0B454515
	v_mul_f32_e32 v163, v21, v163                              // 000000021624: 0B474715
	v_mul_f32_e32 v164, v21, v164                              // 000000021628: 0B494915
	v_mul_f32_e32 v165, v21, v165                              // 00000002162C: 0B4B4B15
	v_mul_f32_e32 v166, v21, v166                              // 000000021630: 0B4D4D15
	v_mul_f32_e32 v167, v21, v167                              // 000000021634: 0B4F4F15
	v_mul_f32_e32 v168, v21, v168                              // 000000021638: 0B515115
	v_mul_f32_e32 v169, v21, v169                              // 00000002163C: 0B535315
	v_mul_f32_e32 v170, v21, v170                              // 000000021640: 0B555515
	v_mul_f32_e32 v171, v21, v171                              // 000000021644: 0B575715
	v_mul_f32_e32 v172, v21, v172                              // 000000021648: 0B595915
	v_mul_f32_e32 v173, v21, v173                              // 00000002164C: 0B5B5B15
	v_mul_f32_e32 v174, v21, v174                              // 000000021650: 0B5D5D15
	v_mul_f32_e32 v175, v21, v175                              // 000000021654: 0B5F5F15
	v_mul_f32_dpp v160, v248, v160 quad_perm:[0,0,0,0] row_mask:0xf bank_mask:0xf// 000000021658: 0B4140FA FF0000F8
	v_mul_f32_dpp v161, v248, v161 quad_perm:[1,1,1,1] row_mask:0xf bank_mask:0xf// 000000021660: 0B4342FA FF0055F8
	v_mul_f32_dpp v162, v248, v162 quad_perm:[2,2,2,2] row_mask:0xf bank_mask:0xf// 000000021668: 0B4544FA FF00AAF8
	v_mul_f32_dpp v163, v248, v163 quad_perm:[3,3,3,3] row_mask:0xf bank_mask:0xf// 000000021670: 0B4746FA FF00FFF8
	v_mul_f32_dpp v164, v249, v164 quad_perm:[0,0,0,0] row_mask:0xf bank_mask:0xf// 000000021678: 0B4948FA FF0000F9
	v_mul_f32_dpp v165, v249, v165 quad_perm:[1,1,1,1] row_mask:0xf bank_mask:0xf// 000000021680: 0B4B4AFA FF0055F9
	v_mul_f32_dpp v166, v249, v166 quad_perm:[2,2,2,2] row_mask:0xf bank_mask:0xf// 000000021688: 0B4D4CFA FF00AAF9
	v_mul_f32_dpp v167, v249, v167 quad_perm:[3,3,3,3] row_mask:0xf bank_mask:0xf// 000000021690: 0B4F4EFA FF00FFF9
	v_mul_f32_dpp v168, v250, v168 quad_perm:[0,0,0,0] row_mask:0xf bank_mask:0xf// 000000021698: 0B5150FA FF0000FA
	v_mul_f32_dpp v169, v250, v169 quad_perm:[1,1,1,1] row_mask:0xf bank_mask:0xf// 0000000216A0: 0B5352FA FF0055FA
	v_mul_f32_dpp v170, v250, v170 quad_perm:[2,2,2,2] row_mask:0xf bank_mask:0xf// 0000000216A8: 0B5554FA FF00AAFA
	v_mul_f32_dpp v171, v250, v171 quad_perm:[3,3,3,3] row_mask:0xf bank_mask:0xf// 0000000216B0: 0B5756FA FF00FFFA
	v_mul_f32_dpp v172, v251, v172 quad_perm:[0,0,0,0] row_mask:0xf bank_mask:0xf// 0000000216B8: 0B5958FA FF0000FB
	v_mul_f32_dpp v173, v251, v173 quad_perm:[1,1,1,1] row_mask:0xf bank_mask:0xf// 0000000216C0: 0B5B5AFA FF0055FB
	v_mul_f32_dpp v174, v251, v174 quad_perm:[2,2,2,2] row_mask:0xf bank_mask:0xf// 0000000216C8: 0B5D5CFA FF00AAFB
	v_mul_f32_dpp v175, v251, v175 quad_perm:[3,3,3,3] row_mask:0xf bank_mask:0xf// 0000000216D0: 0B5F5EFA FF00FFFB
	v_mov_b32_e32 v48, v160                                    // 0000000216D8: 7E6003A0
	v_max3_f32 v48, v160, v161, v48                            // 0000000216DC: D1D30030 04C343A0
	v_max3_f32 v48, v162, v163, v48                            // 0000000216E4: D1D30030 04C347A2
	v_max3_f32 v48, v164, v165, v48                            // 0000000216EC: D1D30030 04C34BA4
	v_max3_f32 v48, v166, v167, v48                            // 0000000216F4: D1D30030 04C34FA6
	v_max3_f32 v48, v168, v169, v48                            // 0000000216FC: D1D30030 04C353A8
	v_max3_f32 v48, v170, v171, v48                            // 000000021704: D1D30030 04C357AA
	v_max3_f32 v48, v172, v173, v48                            // 00000002170C: D1D30030 04C35BAC
	v_max3_f32 v48, v174, v175, v48                            // 000000021714: D1D30030 04C35FAE
	ds_write_b32 v8, v48 offset:16896                          // 00000002171C: D81A4200 00003008
	v_mul_f32_e32 v232, v52, v232                              // 000000021724: 0BD1D134
	v_mul_f32_e32 v233, v52, v233                              // 000000021728: 0BD3D334
	v_mul_f32_e32 v234, v52, v234                              // 00000002172C: 0BD5D534
	v_mul_f32_e32 v235, v52, v235                              // 000000021730: 0BD7D734
	v_mul_f32_e32 v236, v52, v236                              // 000000021734: 0BD9D934
	v_mul_f32_e32 v237, v52, v237                              // 000000021738: 0BDBDB34
	v_mul_f32_e32 v238, v52, v238                              // 00000002173C: 0BDDDD34
	v_mul_f32_e32 v239, v52, v239                              // 000000021740: 0BDFDF34
	s_waitcnt lgkmcnt(0)                                       // 000000021744: BF8CC07F
	s_barrier                                                  // 000000021748: BF8A0000
	ds_read_b32 v64, v7 offset:16896                           // 00000002174C: D86C4200 40000007
	ds_read_b32 v65, v7 offset:16960                           // 000000021754: D86C4240 41000007
	ds_read_b32 v66, v7 offset:17024                           // 00000002175C: D86C4280 42000007
	ds_read_b32 v67, v7 offset:17088                           // 000000021764: D86C42C0 43000007
	ds_read_b32 v68, v7 offset:17152                           // 00000002176C: D86C4300 44000007
	ds_read_b32 v69, v7 offset:17216                           // 000000021774: D86C4340 45000007
	ds_read_b32 v70, v7 offset:17280                           // 00000002177C: D86C4380 46000007
	ds_read_b32 v71, v7 offset:17344                           // 000000021784: D86C43C0 47000007
	ds_read_b32 v72, v7 offset:17408                           // 00000002178C: D86C4400 48000007
	ds_read_b32 v73, v7 offset:17472                           // 000000021794: D86C4440 49000007
	ds_read_b32 v74, v7 offset:17536                           // 00000002179C: D86C4480 4A000007
	ds_read_b32 v75, v7 offset:17600                           // 0000000217A4: D86C44C0 4B000007
	ds_read_b32 v76, v7 offset:17664                           // 0000000217AC: D86C4500 4C000007
	ds_read_b32 v77, v7 offset:17728                           // 0000000217B4: D86C4540 4D000007
	ds_read_b32 v78, v7 offset:17792                           // 0000000217BC: D86C4580 4E000007
	ds_read_b32 v79, v7 offset:17856                           // 0000000217C4: D86C45C0 4F000007
	v_mul_f32_e32 v200, v47, v200                              // 0000000217CC: 0B91912F
	v_mul_f32_e32 v201, v47, v201                              // 0000000217D0: 0B93932F
	v_mul_f32_e32 v202, v47, v202                              // 0000000217D4: 0B95952F
	v_mul_f32_e32 v203, v47, v203                              // 0000000217D8: 0B97972F
	v_mul_f32_e32 v204, v47, v204                              // 0000000217DC: 0B99992F
	v_mul_f32_e32 v205, v47, v205                              // 0000000217E0: 0B9B9B2F
	v_mul_f32_e32 v206, v47, v206                              // 0000000217E4: 0B9D9D2F
	v_mul_f32_e32 v207, v47, v207                              // 0000000217E8: 0B9F9F2F
	s_waitcnt lgkmcnt(0)                                       // 0000000217EC: BF8CC07F
	v_max3_f32 v48, v64, v65, v48                              // 0000000217F0: D1D30030 04C28340
	v_max3_f32 v48, v66, v67, v48                              // 0000000217F8: D1D30030 04C28742
	v_max3_f32 v48, v68, v69, v48                              // 000000021800: D1D30030 04C28B44
	v_max3_f32 v48, v70, v71, v48                              // 000000021808: D1D30030 04C28F46
	v_max3_f32 v48, v72, v73, v48                              // 000000021810: D1D30030 04C29348
	v_max3_f32 v48, v74, v75, v48                              // 000000021818: D1D30030 04C2974A
	v_max3_f32 v48, v76, v77, v48                              // 000000021820: D1D30030 04C29B4C
	v_max3_f32 v48, v78, v79, v48                              // 000000021828: D1D30030 04C29F4E
	v_mov_b32_e32 v64, 0xff800000                              // 000000021830: 7E8002FF FF800000
	v_cmp_eq_u32_e64 s[40:41], v64, v14                        // 000000021838: D0CA0028 00021D40
	s_nop 1                                                    // 000000021840: BF800001
	v_max_f32_e32 v15, v48, v14                                // 000000021844: 161E1D30
	v_mul_f32_e32 v53, s64, v15                                // 000000021848: 0A6A1E40
	v_fma_f32 v160, v160, s64, -v53                            // 00000002184C: D1CB00A0 84D481A0
	v_fma_f32 v161, v161, s64, -v53                            // 000000021854: D1CB00A1 84D481A1
	v_fma_f32 v162, v162, s64, -v53                            // 00000002185C: D1CB00A2 84D481A2
	v_fma_f32 v163, v163, s64, -v53                            // 000000021864: D1CB00A3 84D481A3
	v_fma_f32 v164, v164, s64, -v53                            // 00000002186C: D1CB00A4 84D481A4
	v_fma_f32 v165, v165, s64, -v53                            // 000000021874: D1CB00A5 84D481A5
	v_fma_f32 v166, v166, s64, -v53                            // 00000002187C: D1CB00A6 84D481A6
	v_fma_f32 v167, v167, s64, -v53                            // 000000021884: D1CB00A7 84D481A7
	v_fma_f32 v168, v168, s64, -v53                            // 00000002188C: D1CB00A8 84D481A8
	v_fma_f32 v169, v169, s64, -v53                            // 000000021894: D1CB00A9 84D481A9
	v_fma_f32 v170, v170, s64, -v53                            // 00000002189C: D1CB00AA 84D481AA
	v_fma_f32 v171, v171, s64, -v53                            // 0000000218A4: D1CB00AB 84D481AB
	v_fma_f32 v172, v172, s64, -v53                            // 0000000218AC: D1CB00AC 84D481AC
	v_fma_f32 v173, v173, s64, -v53                            // 0000000218B4: D1CB00AD 84D481AD
	v_fma_f32 v174, v174, s64, -v53                            // 0000000218BC: D1CB00AE 84D481AE
	v_fma_f32 v175, v175, s64, -v53                            // 0000000218C4: D1CB00AF 84D481AF
	v_exp_f32_e32 v160, v160                                   // 0000000218CC: 7F4041A0
	v_exp_f32_e32 v161, v161                                   // 0000000218D0: 7F4241A1
	v_exp_f32_e32 v162, v162                                   // 0000000218D4: 7F4441A2
	v_exp_f32_e32 v163, v163                                   // 0000000218D8: 7F4641A3
	v_exp_f32_e32 v164, v164                                   // 0000000218DC: 7F4841A4
	v_exp_f32_e32 v165, v165                                   // 0000000218E0: 7F4A41A5
	v_exp_f32_e32 v166, v166                                   // 0000000218E4: 7F4C41A6
	v_exp_f32_e32 v167, v167                                   // 0000000218E8: 7F4E41A7
	v_exp_f32_e32 v168, v168                                   // 0000000218EC: 7F5041A8
	v_exp_f32_e32 v169, v169                                   // 0000000218F0: 7F5241A9
	v_exp_f32_e32 v170, v170                                   // 0000000218F4: 7F5441AA
	v_exp_f32_e32 v171, v171                                   // 0000000218F8: 7F5641AB
	v_exp_f32_e32 v172, v172                                   // 0000000218FC: 7F5841AC
	v_exp_f32_e32 v173, v173                                   // 000000021900: 7F5A41AD
	v_exp_f32_e32 v174, v174                                   // 000000021904: 7F5C41AE
	v_exp_f32_e32 v175, v175                                   // 000000021908: 7F5E41AF
	v_mul_f32_dpp v240, v252, v160 quad_perm:[0,0,0,0] row_mask:0xf bank_mask:0xf// 00000002190C: 0BE140FA FF0000FC
	v_mul_f32_dpp v241, v252, v161 quad_perm:[1,1,1,1] row_mask:0xf bank_mask:0xf// 000000021914: 0BE342FA FF0055FC
	v_mul_f32_dpp v242, v252, v162 quad_perm:[2,2,2,2] row_mask:0xf bank_mask:0xf// 00000002191C: 0BE544FA FF00AAFC
	v_mul_f32_dpp v243, v252, v163 quad_perm:[3,3,3,3] row_mask:0xf bank_mask:0xf// 000000021924: 0BE746FA FF00FFFC
	v_mul_f32_dpp v244, v253, v164 quad_perm:[0,0,0,0] row_mask:0xf bank_mask:0xf// 00000002192C: 0BE948FA FF0000FD
	v_mul_f32_dpp v245, v253, v165 quad_perm:[1,1,1,1] row_mask:0xf bank_mask:0xf// 000000021934: 0BEB4AFA FF0055FD
	v_mul_f32_dpp v246, v253, v166 quad_perm:[2,2,2,2] row_mask:0xf bank_mask:0xf// 00000002193C: 0BED4CFA FF00AAFD
	v_mul_f32_dpp v247, v253, v167 quad_perm:[3,3,3,3] row_mask:0xf bank_mask:0xf// 000000021944: 0BEF4EFA FF00FFFD
	v_mul_f32_dpp v248, v254, v168 quad_perm:[0,0,0,0] row_mask:0xf bank_mask:0xf// 00000002194C: 0BF150FA FF0000FE
	v_mul_f32_dpp v249, v254, v169 quad_perm:[1,1,1,1] row_mask:0xf bank_mask:0xf// 000000021954: 0BF352FA FF0055FE
	v_mul_f32_dpp v250, v254, v170 quad_perm:[2,2,2,2] row_mask:0xf bank_mask:0xf// 00000002195C: 0BF554FA FF00AAFE
	v_mul_f32_dpp v251, v254, v171 quad_perm:[3,3,3,3] row_mask:0xf bank_mask:0xf// 000000021964: 0BF756FA FF00FFFE
	v_mul_f32_dpp v252, v255, v172 quad_perm:[0,0,0,0] row_mask:0xf bank_mask:0xf// 00000002196C: 0BF958FA FF0000FF
	v_mul_f32_dpp v253, v255, v173 quad_perm:[1,1,1,1] row_mask:0xf bank_mask:0xf// 000000021974: 0BFB5AFA FF0055FF
	v_mul_f32_dpp v254, v255, v174 quad_perm:[2,2,2,2] row_mask:0xf bank_mask:0xf// 00000002197C: 0BFD5CFA FF00AAFF
	v_mul_f32_dpp v255, v255, v175 quad_perm:[3,3,3,3] row_mask:0xf bank_mask:0xf// 000000021984: 0BFF5EFA FF00FFFF
	v_mov_b32_e32 v48, 0x358637bd                              // 00000002198C: 7E6002FF 358637BD
	v_max3_f32 v48, |v240|, |v241|, v48                        // 000000021994: D1D30330 04C3E3F0
	v_max3_f32 v48, |v242|, |v243|, v48                        // 00000002199C: D1D30330 04C3E7F2
	v_max3_f32 v48, |v244|, |v245|, v48                        // 0000000219A4: D1D30330 04C3EBF4
	v_max3_f32 v48, |v246|, |v247|, v48                        // 0000000219AC: D1D30330 04C3EFF6
	v_max3_f32 v48, |v248|, |v249|, v48                        // 0000000219B4: D1D30330 04C3F3F8
	v_max3_f32 v48, |v250|, |v251|, v48                        // 0000000219BC: D1D30330 04C3F7FA
	v_max3_f32 v48, |v252|, |v253|, v48                        // 0000000219C4: D1D30330 04C3FBFC
	v_max3_f32 v48, |v254|, |v255|, v48                        // 0000000219CC: D1D30330 04C3FFFE
	ds_write_b32 v8, v48 offset:20992                          // 0000000219D4: D81A5200 00003008
	v_sub_f32_e32 v52, v14, v15                                // 0000000219DC: 04681F0E
	v_cndmask_b32_e64 v52, v52, 0, s[40:41]                    // 0000000219E0: D1000034 00A10134
	v_mov_b32_e32 v14, v15                                     // 0000000219E8: 7E1C030F
	v_mul_f32_e32 v52, s64, v52                                // 0000000219EC: 0A686840
	v_exp_f32_e32 v52, v52                                     // 0000000219F0: 7E684134
	s_waitcnt lgkmcnt(0)                                       // 0000000219F4: BF8CC07F
	s_barrier                                                  // 0000000219F8: BF8A0000
	ds_read_b32 v64, v7 offset:20992                           // 0000000219FC: D86C5200 40000007
	ds_read_b32 v65, v7 offset:21056                           // 000000021A04: D86C5240 41000007
	ds_read_b32 v66, v7 offset:21120                           // 000000021A0C: D86C5280 42000007
	ds_read_b32 v67, v7 offset:21184                           // 000000021A14: D86C52C0 43000007
	ds_read_b32 v68, v7 offset:21248                           // 000000021A1C: D86C5300 44000007
	ds_read_b32 v69, v7 offset:21312                           // 000000021A24: D86C5340 45000007
	ds_read_b32 v70, v7 offset:21376                           // 000000021A2C: D86C5380 46000007
	ds_read_b32 v71, v7 offset:21440                           // 000000021A34: D86C53C0 47000007
	ds_read_b32 v72, v7 offset:21504                           // 000000021A3C: D86C5400 48000007
	ds_read_b32 v73, v7 offset:21568                           // 000000021A44: D86C5440 49000007
	ds_read_b32 v74, v7 offset:21632                           // 000000021A4C: D86C5480 4A000007
	ds_read_b32 v75, v7 offset:21696                           // 000000021A54: D86C54C0 4B000007
	ds_read_b32 v76, v7 offset:21760                           // 000000021A5C: D86C5500 4C000007
	ds_read_b32 v77, v7 offset:21824                           // 000000021A64: D86C5540 4D000007
	ds_read_b32 v78, v7 offset:21888                           // 000000021A6C: D86C5580 4E000007
	ds_read_b32 v79, v7 offset:21952                           // 000000021A74: D86C55C0 4F000007
	v_mul_f32_e32 v41, v52, v41                                // 000000021A7C: 0A525334
	v_mov_b32_e32 v15, v160                                    // 000000021A80: 7E1E03A0
	v_add_f32_e32 v15, v161, v15                               // 000000021A84: 021E1FA1
	v_add_f32_e32 v15, v162, v15                               // 000000021A88: 021E1FA2
	v_add_f32_e32 v15, v163, v15                               // 000000021A8C: 021E1FA3
	v_add_f32_e32 v15, v164, v15                               // 000000021A90: 021E1FA4
	v_add_f32_e32 v15, v165, v15                               // 000000021A94: 021E1FA5
	v_add_f32_e32 v15, v166, v15                               // 000000021A98: 021E1FA6
	v_add_f32_e32 v15, v167, v15                               // 000000021A9C: 021E1FA7
	v_add_f32_e32 v15, v168, v15                               // 000000021AA0: 021E1FA8
	v_add_f32_e32 v15, v169, v15                               // 000000021AA4: 021E1FA9
	v_add_f32_e32 v15, v170, v15                               // 000000021AA8: 021E1FAA
	v_add_f32_e32 v15, v171, v15                               // 000000021AAC: 021E1FAB
	v_add_f32_e32 v15, v172, v15                               // 000000021AB0: 021E1FAC
	v_add_f32_e32 v15, v173, v15                               // 000000021AB4: 021E1FAD
	v_add_f32_e32 v15, v174, v15                               // 000000021AB8: 021E1FAE
	v_add_f32_e32 v15, v175, v15                               // 000000021ABC: 021E1FAF
	v_add_f32_e32 v41, v15, v41                                // 000000021AC0: 0252530F
	s_waitcnt lgkmcnt(0)                                       // 000000021AC4: BF8CC07F
	v_max3_f32 v48, |v64|, |v65|, v48                          // 000000021AC8: D1D30330 04C28340
	v_max3_f32 v48, |v66|, |v67|, v48                          // 000000021AD0: D1D30330 04C28742
	v_max3_f32 v48, |v68|, |v69|, v48                          // 000000021AD8: D1D30330 04C28B44
	v_max3_f32 v48, |v70|, |v71|, v48                          // 000000021AE0: D1D30330 04C28F46
	v_max3_f32 v48, |v72|, |v73|, v48                          // 000000021AE8: D1D30330 04C29348
	v_max3_f32 v48, |v74|, |v75|, v48                          // 000000021AF0: D1D30330 04C2974A
	v_max3_f32 v48, |v76|, |v77|, v48                          // 000000021AF8: D1D30330 04C29B4C
	v_max3_f32 v48, |v78|, |v79|, v48                          // 000000021B00: D1D30330 04C29F4E
	s_nop 2                                                    // 000000021B08: BF800002
	v_rcp_f32_e32 v48, v48                                     // 000000021B0C: 7E604530
	s_nop 1                                                    // 000000021B10: BF800001
	v_mul_f32_e32 v48, 0x43e00000, v48                         // 000000021B14: 0A6060FF 43E00000
	v_mul_f32_e32 v160, v48, v240                              // 000000021B1C: 0B41E130
	v_mul_f32_e32 v161, v48, v241                              // 000000021B20: 0B43E330
	v_mul_f32_e32 v162, v48, v242                              // 000000021B24: 0B45E530
	v_mul_f32_e32 v163, v48, v243                              // 000000021B28: 0B47E730
	v_mul_f32_e32 v164, v48, v244                              // 000000021B2C: 0B49E930
	v_mul_f32_e32 v165, v48, v245                              // 000000021B30: 0B4BEB30
	v_mul_f32_e32 v166, v48, v246                              // 000000021B34: 0B4DED30
	v_mul_f32_e32 v167, v48, v247                              // 000000021B38: 0B4FEF30
	v_mul_f32_e32 v168, v48, v248                              // 000000021B3C: 0B51F130
	v_mul_f32_e32 v169, v48, v249                              // 000000021B40: 0B53F330
	v_mul_f32_e32 v170, v48, v250                              // 000000021B44: 0B55F530
	v_mul_f32_e32 v171, v48, v251                              // 000000021B48: 0B57F730
	v_mul_f32_e32 v172, v48, v252                              // 000000021B4C: 0B59F930
	v_mul_f32_e32 v173, v48, v253                              // 000000021B50: 0B5BFB30
	v_mul_f32_e32 v174, v48, v254                              // 000000021B54: 0B5DFD30
	v_mul_f32_e32 v175, v48, v255                              // 000000021B58: 0B5FFF30
	v_cvt_pk_fp8_f32 v160, v160, v161                          // 000000021B5C: D2A200A0 000343A0
	v_cvt_pk_fp8_f32 v160, v162, v163 op_sel:[0,0,1]           // 000000021B64: D2A240A0 000347A2
	v_cvt_pk_fp8_f32 v161, v164, v165                          // 000000021B6C: D2A200A1 00034BA4
	v_cvt_pk_fp8_f32 v161, v166, v167 op_sel:[0,0,1]           // 000000021B74: D2A240A1 00034FA6
	v_cvt_pk_fp8_f32 v162, v168, v169                          // 000000021B7C: D2A200A2 000353A8
	v_cvt_pk_fp8_f32 v162, v170, v171 op_sel:[0,0,1]           // 000000021B84: D2A240A2 000357AA
	v_cvt_pk_fp8_f32 v163, v172, v173                          // 000000021B8C: D2A200A3 00035BAC
	v_cvt_pk_fp8_f32 v163, v174, v175 op_sel:[0,0,1]           // 000000021B94: D2A240A3 00035FAE
	ds_write_b32 v10, v160 offset:37376                        // 000000021B9C: D81A9200 0000A00A
	ds_write_b32 v10, v161 offset:38400                        // 000000021BA4: D81A9600 0000A10A
	ds_write_b32 v10, v162 offset:39424                        // 000000021BAC: D81A9A00 0000A20A
	ds_write_b32 v10, v163 offset:40448                        // 000000021BB4: D81A9E00 0000A30A
	v_add_f32_e32 v232, v232, v200                             // 000000021BBC: 03D191E8
	v_add_f32_e32 v233, v233, v201                             // 000000021BC0: 03D393E9
	v_add_f32_e32 v234, v234, v202                             // 000000021BC4: 03D595EA
	v_add_f32_e32 v235, v235, v203                             // 000000021BC8: 03D797EB
	v_add_f32_e32 v236, v236, v204                             // 000000021BCC: 03D999EC
	v_add_f32_e32 v237, v237, v205                             // 000000021BD0: 03DB9BED
	v_add_f32_e32 v238, v238, v206                             // 000000021BD4: 03DD9DEE
	v_add_f32_e32 v239, v239, v207                             // 000000021BD8: 03DF9FEF
	v_rcp_f32_e32 v47, v48                                     // 000000021BDC: 7E5E4530
	s_waitcnt lgkmcnt(0)                                       // 000000021BE0: BF8CC07F
	s_barrier                                                  // 000000021BE4: BF8A0000
	ds_read_b64 v[160:161], v9 offset:37376                    // 000000021BE8: D8EC9200 A0000009
	ds_read_b64 v[162:163], v9 offset:37504                    // 000000021BF0: D8EC9280 A2000009
	ds_read_b64 v[164:165], v9 offset:38400                    // 000000021BF8: D8EC9600 A4000009
	ds_read_b64 v[166:167], v9 offset:38528                    // 000000021C00: D8EC9680 A6000009
	ds_read_b64 v[168:169], v9 offset:39424                    // 000000021C08: D8EC9A00 A8000009
	ds_read_b64 v[170:171], v9 offset:39552                    // 000000021C10: D8EC9A80 AA000009
	ds_read_b64 v[172:173], v9 offset:40448                    // 000000021C18: D8EC9E00 AC000009
	ds_read_b64 v[174:175], v9 offset:40576                    // 000000021C20: D8EC9E80 AE000009
	s_waitcnt vmcnt(15)                                        // 000000021C28: BF8C0F7F
	v_mfma_f32_16x16x32_fp8_fp8 v[176:179], a[96:97], v[112:113], 0// 000000021C2C: D3F300B0 0A02E160
	buffer_load_dwordx4 a[80:83], v30, s[20:23], 0 offen offset:1024// 000000021C34: E05C1400 8085501E
	v_mfma_f32_16x16x32_fp8_fp8 v[176:179], a[98:99], v[114:115], v[176:179]// 000000021C3C: D3F300B0 0EC2E562
	v_mfma_f32_16x16x32_fp8_fp8 v[176:179], a[100:101], v[116:117], v[176:179]// 000000021C44: D3F300B0 0EC2E964
	v_mfma_f32_16x16x32_fp8_fp8 v[176:179], a[102:103], v[118:119], v[176:179]// 000000021C4C: D3F300B0 0EC2ED66
	v_mfma_f32_16x16x32_fp8_fp8 v[176:179], a[104:105], v[120:121], v[176:179]// 000000021C54: D3F300B0 0EC2F168
	buffer_load_dwordx4 a[84:87], v31, s[20:23], 0 offen offset:1024// 000000021C5C: E05C1400 8085541F
	v_mfma_f32_16x16x32_fp8_fp8 v[176:179], a[106:107], v[122:123], v[176:179]// 000000021C64: D3F300B0 0EC2F56A
	v_mfma_f32_16x16x32_fp8_fp8 v[176:179], a[108:109], v[124:125], v[176:179]// 000000021C6C: D3F300B0 0EC2F96C
	v_mfma_f32_16x16x32_fp8_fp8 v[176:179], a[110:111], v[126:127], v[176:179]// 000000021C74: D3F300B0 0EC2FD6E
	v_mfma_f32_16x16x32_fp8_fp8 v[180:183], a[112:113], v[112:113], 0// 000000021C7C: D3F300B4 0A02E170
	buffer_load_dwordx4 a[88:91], v32, s[20:23], 0 offen offset:1024// 000000021C84: E05C1400 80855820
	v_mfma_f32_16x16x32_fp8_fp8 v[180:183], a[114:115], v[114:115], v[180:183]// 000000021C8C: D3F300B4 0ED2E572
	v_mfma_f32_16x16x32_fp8_fp8 v[180:183], a[116:117], v[116:117], v[180:183]// 000000021C94: D3F300B4 0ED2E974
	v_mfma_f32_16x16x32_fp8_fp8 v[180:183], a[118:119], v[118:119], v[180:183]// 000000021C9C: D3F300B4 0ED2ED76
	v_mfma_f32_16x16x32_fp8_fp8 v[180:183], a[120:121], v[120:121], v[180:183]// 000000021CA4: D3F300B4 0ED2F178
	buffer_load_dwordx4 a[92:95], v33, s[20:23], 0 offen offset:1024// 000000021CAC: E05C1400 80855C21
	v_mfma_f32_16x16x32_fp8_fp8 v[180:183], a[122:123], v[122:123], v[180:183]// 000000021CB4: D3F300B4 0ED2F57A
	v_mfma_f32_16x16x32_fp8_fp8 v[180:183], a[124:125], v[124:125], v[180:183]// 000000021CBC: D3F300B4 0ED2F97C
	s_lshr_b32 s57, s70, 4                                     // 000000021CC4: 8F398446
	s_add_u32 s57, 48, s57                                     // 000000021CC8: 803939B0
	v_mfma_f32_16x16x32_fp8_fp8 v[180:183], a[126:127], v[126:127], v[180:183]// 000000021CCC: D3F300B4 0ED2FD7E
	s_cmp_ge_u32 s57, s73                                      // 000000021CD4: BF094939
	s_cselect_b32 s56, 0, s56                                  // 000000021CD8: 85383880
	v_mfma_f32_16x16x32_fp8_fp8 v[184:187], a[96:97], v[128:129], 0// 000000021CDC: D3F300B8 0A030160
	v_mfma_f32_16x16x32_fp8_fp8 v[184:187], a[98:99], v[130:131], v[184:187]// 000000021CE4: D3F300B8 0EE30562
	v_mfma_f32_16x16x32_fp8_fp8 v[184:187], a[100:101], v[132:133], v[184:187]// 000000021CEC: D3F300B8 0EE30964
	v_mfma_f32_16x16x32_fp8_fp8 v[184:187], a[102:103], v[134:135], v[184:187]// 000000021CF4: D3F300B8 0EE30D66
	v_mfma_f32_16x16x32_fp8_fp8 v[184:187], a[104:105], v[136:137], v[184:187]// 000000021CFC: D3F300B8 0EE31168
	v_mfma_f32_16x16x32_fp8_fp8 v[184:187], a[106:107], v[138:139], v[184:187]// 000000021D04: D3F300B8 0EE3156A
	v_mfma_f32_16x16x32_fp8_fp8 v[184:187], a[108:109], v[140:141], v[184:187]// 000000021D0C: D3F300B8 0EE3196C
	v_mfma_f32_16x16x32_fp8_fp8 v[184:187], a[110:111], v[142:143], v[184:187]// 000000021D14: D3F300B8 0EE31D6E
	v_mfma_f32_16x16x32_fp8_fp8 v[188:191], a[112:113], v[128:129], 0// 000000021D1C: D3F300BC 0A030170
	v_mfma_f32_16x16x32_fp8_fp8 v[188:191], a[114:115], v[130:131], v[188:191]// 000000021D24: D3F300BC 0EF30572
	v_mfma_f32_16x16x32_fp8_fp8 v[188:191], a[116:117], v[132:133], v[188:191]// 000000021D2C: D3F300BC 0EF30974
	v_mfma_f32_16x16x32_fp8_fp8 v[188:191], a[118:119], v[134:135], v[188:191]// 000000021D34: D3F300BC 0EF30D76
	v_mfma_f32_16x16x32_fp8_fp8 v[188:191], a[120:121], v[136:137], v[188:191]// 000000021D3C: D3F300BC 0EF31178
	v_mfma_f32_16x16x32_fp8_fp8 v[188:191], a[122:123], v[138:139], v[188:191]// 000000021D44: D3F300BC 0EF3157A
	v_mfma_f32_16x16x32_fp8_fp8 v[188:191], a[124:125], v[140:141], v[188:191]// 000000021D4C: D3F300BC 0EF3197C
	v_mfma_f32_16x16x32_fp8_fp8 v[188:191], a[126:127], v[142:143], v[188:191]// 000000021D54: D3F300BC 0EF31D7E
	v_mfma_f32_16x16x32_fp8_fp8 v[192:195], a[96:97], v[144:145], 0// 000000021D5C: D3F300C0 0A032160
	v_mfma_f32_16x16x32_fp8_fp8 v[192:195], a[98:99], v[146:147], v[192:195]// 000000021D64: D3F300C0 0F032562
	v_mfma_f32_16x16x32_fp8_fp8 v[192:195], a[100:101], v[148:149], v[192:195]// 000000021D6C: D3F300C0 0F032964
	v_mfma_f32_16x16x32_fp8_fp8 v[192:195], a[102:103], v[150:151], v[192:195]// 000000021D74: D3F300C0 0F032D66
	v_mfma_f32_16x16x32_fp8_fp8 v[192:195], a[104:105], v[152:153], v[192:195]// 000000021D7C: D3F300C0 0F033168
	v_mfma_f32_16x16x32_fp8_fp8 v[192:195], a[106:107], v[154:155], v[192:195]// 000000021D84: D3F300C0 0F03356A
	v_mfma_f32_16x16x32_fp8_fp8 v[192:195], a[108:109], v[156:157], v[192:195]// 000000021D8C: D3F300C0 0F03396C
	v_mfma_f32_16x16x32_fp8_fp8 v[192:195], a[110:111], v[158:159], v[192:195]// 000000021D94: D3F300C0 0F033D6E
	v_mfma_f32_16x16x32_fp8_fp8 v[196:199], a[112:113], v[144:145], 0// 000000021D9C: D3F300C4 0A032170
	v_mfma_f32_16x16x32_fp8_fp8 v[196:199], a[114:115], v[146:147], v[196:199]// 000000021DA4: D3F300C4 0F132572
	v_mfma_f32_16x16x32_fp8_fp8 v[196:199], a[116:117], v[148:149], v[196:199]// 000000021DAC: D3F300C4 0F132974
	v_mfma_f32_16x16x32_fp8_fp8 v[196:199], a[118:119], v[150:151], v[196:199]// 000000021DB4: D3F300C4 0F132D76
	v_mfma_f32_16x16x32_fp8_fp8 v[196:199], a[120:121], v[152:153], v[196:199]// 000000021DBC: D3F300C4 0F133178
	v_mfma_f32_16x16x32_fp8_fp8 v[196:199], a[122:123], v[154:155], v[196:199]// 000000021DC4: D3F300C4 0F13357A
	v_mfma_f32_16x16x32_fp8_fp8 v[196:199], a[124:125], v[156:157], v[196:199]// 000000021DCC: D3F300C4 0F13397C
	v_mfma_f32_16x16x32_fp8_fp8 v[196:199], a[126:127], v[158:159], v[196:199]// 000000021DD4: D3F300C4 0F133D7E
	v_mfma_f32_16x16x32_fp8_fp8 v[200:203], a[96:97], v[160:161], 0// 000000021DDC: D3F300C8 0A034160
	v_mfma_f32_16x16x32_fp8_fp8 v[200:203], a[98:99], v[162:163], v[200:203]// 000000021DE4: D3F300C8 0F234562
	v_mfma_f32_16x16x32_fp8_fp8 v[200:203], a[100:101], v[164:165], v[200:203]// 000000021DEC: D3F300C8 0F234964
	v_mfma_f32_16x16x32_fp8_fp8 v[200:203], a[102:103], v[166:167], v[200:203]// 000000021DF4: D3F300C8 0F234D66
	v_mfma_f32_16x16x32_fp8_fp8 v[200:203], a[104:105], v[168:169], v[200:203]// 000000021DFC: D3F300C8 0F235168
	v_mfma_f32_16x16x32_fp8_fp8 v[200:203], a[106:107], v[170:171], v[200:203]// 000000021E04: D3F300C8 0F23556A
	v_mfma_f32_16x16x32_fp8_fp8 v[200:203], a[108:109], v[172:173], v[200:203]// 000000021E0C: D3F300C8 0F23596C
	v_mfma_f32_16x16x32_fp8_fp8 v[200:203], a[110:111], v[174:175], v[200:203]// 000000021E14: D3F300C8 0F235D6E
	v_mfma_f32_16x16x32_fp8_fp8 v[204:207], a[112:113], v[160:161], 0// 000000021E1C: D3F300CC 0A034170
	v_mfma_f32_16x16x32_fp8_fp8 v[204:207], a[114:115], v[162:163], v[204:207]// 000000021E24: D3F300CC 0F334572
	v_mfma_f32_16x16x32_fp8_fp8 v[204:207], a[116:117], v[164:165], v[204:207]// 000000021E2C: D3F300CC 0F334974
	v_mfma_f32_16x16x32_fp8_fp8 v[204:207], a[118:119], v[166:167], v[204:207]// 000000021E34: D3F300CC 0F334D76
	v_mfma_f32_16x16x32_fp8_fp8 v[204:207], a[120:121], v[168:169], v[204:207]// 000000021E3C: D3F300CC 0F335178
	v_mfma_f32_16x16x32_fp8_fp8 v[204:207], a[122:123], v[170:171], v[204:207]// 000000021E44: D3F300CC 0F33557A
	v_mfma_f32_16x16x32_fp8_fp8 v[204:207], a[124:125], v[172:173], v[204:207]// 000000021E4C: D3F300CC 0F33597C
	v_mfma_f32_16x16x32_fp8_fp8 v[204:207], a[126:127], v[174:175], v[204:207]// 000000021E54: D3F300CC 0F335D7E
	v_add_u32_e32 v1, s56, v1                                  // 000000021E5C: 68020238
	s_addk_i32 s70, 0x100                                      // 000000021E60: B7460100
	s_cmp_lt_i32 s70, s71                                      // 000000021E64: BF044746
	s_cbranch_scc0 label_6EBC                                  // 000000021E68: BF84EFA1
	s_branch label_6EBF                                        // 000000021E6C: BF82EFA3

0000000000021e70 <label_7F1C>:
	s_lshr_b32 s60, s71, 4                                     // 000000021E70: 8F3C8447
	s_cmp_eq_i32 s60, s73                                      // 000000021E74: BF00493C
	s_cbranch_scc1 label_9267                                  // 000000021E78: BF851348
	s_lshr_b32 s60, s71, 8                                     // 000000021E7C: 8F3C8847
	s_and_b32 s60, s60, 1                                      // 000000021E80: 863C813C
	s_cmp_eq_i32 s60, 1                                        // 000000021E84: BF00813C
	s_cbranch_scc1 label_88C5                                  // 000000021E88: BF8509A2
	s_waitcnt vmcnt(8) lgkmcnt(0)                              // 000000021E8C: BF8C0078
	s_barrier                                                  // 000000021E90: BF8A0000
	v_mfma_f32_16x16x32_fp8_fp8 v[112:115], a[0:1], v[80:81], 0// 000000021E94: D3F30070 0A02A100
	v_mfma_f32_16x16x32_fp8_fp8 v[112:115], a[2:3], v[82:83], v[112:115]// 000000021E9C: D3F30070 0DC2A502
	v_mfma_f32_16x16x32_fp8_fp8 v[112:115], a[4:5], v[84:85], v[112:115]// 000000021EA4: D3F30070 0DC2A904
	v_mfma_f32_16x16x32_fp8_fp8 v[112:115], a[6:7], v[86:87], v[112:115]// 000000021EAC: D3F30070 0DC2AD06
	v_mfma_f32_16x16x32_fp8_fp8 v[116:119], a[8:9], v[80:81], 0// 000000021EB4: D3F30074 0A02A108
	v_mfma_f32_16x16x32_fp8_fp8 v[116:119], a[10:11], v[82:83], v[116:119]// 000000021EBC: D3F30074 0DD2A50A
	v_mfma_f32_16x16x32_fp8_fp8 v[116:119], a[12:13], v[84:85], v[116:119]// 000000021EC4: D3F30074 0DD2A90C
	v_mfma_f32_16x16x32_fp8_fp8 v[116:119], a[14:15], v[86:87], v[116:119]// 000000021ECC: D3F30074 0DD2AD0E
	v_mfma_f32_16x16x32_fp8_fp8 v[120:123], a[16:17], v[80:81], 0// 000000021ED4: D3F30078 0A02A110
	v_mfma_f32_16x16x32_fp8_fp8 v[120:123], a[18:19], v[82:83], v[120:123]// 000000021EDC: D3F30078 0DE2A512
	v_mfma_f32_16x16x32_fp8_fp8 v[120:123], a[20:21], v[84:85], v[120:123]// 000000021EE4: D3F30078 0DE2A914
	v_mfma_f32_16x16x32_fp8_fp8 v[120:123], a[22:23], v[86:87], v[120:123]// 000000021EEC: D3F30078 0DE2AD16
	v_mfma_f32_16x16x32_fp8_fp8 v[124:127], a[24:25], v[80:81], 0// 000000021EF4: D3F3007C 0A02A118
	v_mfma_f32_16x16x32_fp8_fp8 v[124:127], a[26:27], v[82:83], v[124:127]// 000000021EFC: D3F3007C 0DF2A51A
	v_mfma_f32_16x16x32_fp8_fp8 v[124:127], a[28:29], v[84:85], v[124:127]// 000000021F04: D3F3007C 0DF2A91C
	v_mfma_f32_16x16x32_fp8_fp8 v[124:127], a[30:31], v[86:87], v[124:127]// 000000021F0C: D3F3007C 0DF2AD1E
	v_mfma_f32_16x16x32_fp8_fp8 v[128:131], a[0:1], v[88:89], 0// 000000021F14: D3F30080 0A02B100
	v_mfma_f32_16x16x32_fp8_fp8 v[128:131], a[2:3], v[90:91], v[128:131]// 000000021F1C: D3F30080 0E02B502
	v_mfma_f32_16x16x32_fp8_fp8 v[128:131], a[4:5], v[92:93], v[128:131]// 000000021F24: D3F30080 0E02B904
	v_mfma_f32_16x16x32_fp8_fp8 v[128:131], a[6:7], v[94:95], v[128:131]// 000000021F2C: D3F30080 0E02BD06
	v_mfma_f32_16x16x32_fp8_fp8 v[132:135], a[8:9], v[88:89], 0// 000000021F34: D3F30084 0A02B108
	v_mfma_f32_16x16x32_fp8_fp8 v[132:135], a[10:11], v[90:91], v[132:135]// 000000021F3C: D3F30084 0E12B50A
	v_mfma_f32_16x16x32_fp8_fp8 v[132:135], a[12:13], v[92:93], v[132:135]// 000000021F44: D3F30084 0E12B90C
	v_mfma_f32_16x16x32_fp8_fp8 v[132:135], a[14:15], v[94:95], v[132:135]// 000000021F4C: D3F30084 0E12BD0E
	v_mfma_f32_16x16x32_fp8_fp8 v[136:139], a[16:17], v[88:89], 0// 000000021F54: D3F30088 0A02B110
	v_mfma_f32_16x16x32_fp8_fp8 v[136:139], a[18:19], v[90:91], v[136:139]// 000000021F5C: D3F30088 0E22B512
	v_mfma_f32_16x16x32_fp8_fp8 v[136:139], a[20:21], v[92:93], v[136:139]// 000000021F64: D3F30088 0E22B914
	v_mfma_f32_16x16x32_fp8_fp8 v[136:139], a[22:23], v[94:95], v[136:139]// 000000021F6C: D3F30088 0E22BD16
	v_mfma_f32_16x16x32_fp8_fp8 v[140:143], a[24:25], v[88:89], 0// 000000021F74: D3F3008C 0A02B118
	v_mfma_f32_16x16x32_fp8_fp8 v[140:143], a[26:27], v[90:91], v[140:143]// 000000021F7C: D3F3008C 0E32B51A
	v_mfma_f32_16x16x32_fp8_fp8 v[140:143], a[28:29], v[92:93], v[140:143]// 000000021F84: D3F3008C 0E32B91C
	v_mfma_f32_16x16x32_fp8_fp8 v[140:143], a[30:31], v[94:95], v[140:143]// 000000021F8C: D3F3008C 0E32BD1E
	v_mfma_f32_16x16x32_fp8_fp8 v[144:147], a[0:1], v[96:97], 0// 000000021F94: D3F30090 0A02C100
	v_mfma_f32_16x16x32_fp8_fp8 v[144:147], a[2:3], v[98:99], v[144:147]// 000000021F9C: D3F30090 0E42C502
	v_mfma_f32_16x16x32_fp8_fp8 v[144:147], a[4:5], v[100:101], v[144:147]// 000000021FA4: D3F30090 0E42C904
	v_mfma_f32_16x16x32_fp8_fp8 v[144:147], a[6:7], v[102:103], v[144:147]// 000000021FAC: D3F30090 0E42CD06
	v_mfma_f32_16x16x32_fp8_fp8 v[148:151], a[8:9], v[96:97], 0// 000000021FB4: D3F30094 0A02C108
	v_mfma_f32_16x16x32_fp8_fp8 v[148:151], a[10:11], v[98:99], v[148:151]// 000000021FBC: D3F30094 0E52C50A
	v_mfma_f32_16x16x32_fp8_fp8 v[148:151], a[12:13], v[100:101], v[148:151]// 000000021FC4: D3F30094 0E52C90C
	v_mfma_f32_16x16x32_fp8_fp8 v[148:151], a[14:15], v[102:103], v[148:151]// 000000021FCC: D3F30094 0E52CD0E
	v_mfma_f32_16x16x32_fp8_fp8 v[152:155], a[16:17], v[96:97], 0// 000000021FD4: D3F30098 0A02C110
	v_mfma_f32_16x16x32_fp8_fp8 v[152:155], a[18:19], v[98:99], v[152:155]// 000000021FDC: D3F30098 0E62C512
	v_mfma_f32_16x16x32_fp8_fp8 v[152:155], a[20:21], v[100:101], v[152:155]// 000000021FE4: D3F30098 0E62C914
	v_mfma_f32_16x16x32_fp8_fp8 v[152:155], a[22:23], v[102:103], v[152:155]// 000000021FEC: D3F30098 0E62CD16
	v_mfma_f32_16x16x32_fp8_fp8 v[156:159], a[24:25], v[96:97], 0// 000000021FF4: D3F3009C 0A02C118
	v_mfma_f32_16x16x32_fp8_fp8 v[156:159], a[26:27], v[98:99], v[156:159]// 000000021FFC: D3F3009C 0E72C51A
	v_mfma_f32_16x16x32_fp8_fp8 v[156:159], a[28:29], v[100:101], v[156:159]// 000000022004: D3F3009C 0E72C91C
	v_mfma_f32_16x16x32_fp8_fp8 v[156:159], a[30:31], v[102:103], v[156:159]// 00000002200C: D3F3009C 0E72CD1E
	v_mfma_f32_16x16x32_fp8_fp8 v[160:163], a[0:1], v[104:105], 0// 000000022014: D3F300A0 0A02D100
	v_mfma_f32_16x16x32_fp8_fp8 v[160:163], a[2:3], v[106:107], v[160:163]// 00000002201C: D3F300A0 0E82D502
	v_mfma_f32_16x16x32_fp8_fp8 v[160:163], a[4:5], v[108:109], v[160:163]// 000000022024: D3F300A0 0E82D904
	v_mfma_f32_16x16x32_fp8_fp8 v[160:163], a[6:7], v[110:111], v[160:163]// 00000002202C: D3F300A0 0E82DD06
	v_mfma_f32_16x16x32_fp8_fp8 v[164:167], a[8:9], v[104:105], 0// 000000022034: D3F300A4 0A02D108
	v_mfma_f32_16x16x32_fp8_fp8 v[164:167], a[10:11], v[106:107], v[164:167]// 00000002203C: D3F300A4 0E92D50A
	v_mfma_f32_16x16x32_fp8_fp8 v[164:167], a[12:13], v[108:109], v[164:167]// 000000022044: D3F300A4 0E92D90C
	v_mfma_f32_16x16x32_fp8_fp8 v[164:167], a[14:15], v[110:111], v[164:167]// 00000002204C: D3F300A4 0E92DD0E
	v_mfma_f32_16x16x32_fp8_fp8 v[168:171], a[16:17], v[104:105], 0// 000000022054: D3F300A8 0A02D110
	v_mfma_f32_16x16x32_fp8_fp8 v[168:171], a[18:19], v[106:107], v[168:171]// 00000002205C: D3F300A8 0EA2D512
	v_mfma_f32_16x16x32_fp8_fp8 v[168:171], a[20:21], v[108:109], v[168:171]// 000000022064: D3F300A8 0EA2D914
	v_mfma_f32_16x16x32_fp8_fp8 v[168:171], a[22:23], v[110:111], v[168:171]// 00000002206C: D3F300A8 0EA2DD16
	v_mfma_f32_16x16x32_fp8_fp8 v[172:175], a[24:25], v[104:105], 0// 000000022074: D3F300AC 0A02D118
	v_mfma_f32_16x16x32_fp8_fp8 v[172:175], a[26:27], v[106:107], v[172:175]// 00000002207C: D3F300AC 0EB2D51A
	v_mfma_f32_16x16x32_fp8_fp8 v[172:175], a[28:29], v[108:109], v[172:175]// 000000022084: D3F300AC 0EB2D91C
	v_mfma_f32_16x16x32_fp8_fp8 v[172:175], a[30:31], v[110:111], v[172:175]// 00000002208C: D3F300AC 0EB2DD1E
	v_mov_b32_dpp v64, v42 row_shr:4 row_mask:0xf bank_mask:0xf// 000000022094: 7E8002FA FF01142A
	v_mov_b32_dpp v65, v42 row_shl:4 row_mask:0xf bank_mask:0xf// 00000002209C: 7E8202FA FF01042A
	v_cndmask_b32_e64 v248, v42, v64, s[44:45]                 // 0000000220A4: D10000F8 00B2812A
	v_cndmask_b32_e64 v249, v65, v42, s[44:45]                 // 0000000220AC: D10000F9 00B25541
	v_mov_b32_dpp v64, v248 row_shr:8 row_mask:0xf bank_mask:0xf// 0000000220B4: 7E8002FA FF0118F8
	v_mov_b32_dpp v65, v248 row_shl:8 row_mask:0xf bank_mask:0xf// 0000000220BC: 7E8202FA FF0108F8
	v_mov_b32_dpp v66, v249 row_shr:8 row_mask:0xf bank_mask:0xf// 0000000220C4: 7E8402FA FF0118F9
	v_mov_b32_dpp v67, v249 row_shl:8 row_mask:0xf bank_mask:0xf// 0000000220CC: 7E8602FA FF0108F9
	v_mov_b32_e32 v68, v248                                    // 0000000220D4: 7E8803F8
	v_mov_b32_e32 v69, v249                                    // 0000000220D8: 7E8A03F9
	v_cndmask_b32_e64 v248, v68, v64, s[42:43]                 // 0000000220DC: D10000F8 00AA8144
	v_cndmask_b32_e64 v250, v68, v65, s[78:79]                 // 0000000220E4: D10000FA 013A8344
	v_cndmask_b32_e64 v249, v69, v66, s[42:43]                 // 0000000220EC: D10000F9 00AA8545
	v_cndmask_b32_e64 v251, v69, v67, s[78:79]                 // 0000000220F4: D10000FB 013A8745
	v_mov_b32_dpp v64, v57 row_shr:4 row_mask:0xf bank_mask:0xf// 0000000220FC: 7E8002FA FF011439
	v_mov_b32_dpp v65, v57 row_shl:4 row_mask:0xf bank_mask:0xf// 000000022104: 7E8202FA FF010439
	v_cndmask_b32_e64 v252, v57, v64, s[44:45]                 // 00000002210C: D10000FC 00B28139
	v_cndmask_b32_e64 v253, v65, v57, s[44:45]                 // 000000022114: D10000FD 00B27341
	v_mov_b32_dpp v64, v252 row_shr:8 row_mask:0xf bank_mask:0xf// 00000002211C: 7E8002FA FF0118FC
	v_mov_b32_dpp v65, v252 row_shl:8 row_mask:0xf bank_mask:0xf// 000000022124: 7E8202FA FF0108FC
	v_mov_b32_dpp v66, v253 row_shr:8 row_mask:0xf bank_mask:0xf// 00000002212C: 7E8402FA FF0118FD
	v_mov_b32_dpp v67, v253 row_shl:8 row_mask:0xf bank_mask:0xf// 000000022134: 7E8602FA FF0108FD
	v_mov_b32_e32 v68, v252                                    // 00000002213C: 7E8803FC
	v_mov_b32_e32 v69, v253                                    // 000000022140: 7E8A03FD
	v_cndmask_b32_e64 v252, v68, v64, s[42:43]                 // 000000022144: D10000FC 00AA8144
	v_cndmask_b32_e64 v254, v68, v65, s[78:79]                 // 00000002214C: D10000FE 013A8344
	v_cndmask_b32_e64 v253, v69, v66, s[42:43]                 // 000000022154: D10000FD 00AA8545
	v_cndmask_b32_e64 v255, v69, v67, s[78:79]                 // 00000002215C: D10000FF 013A8745
	v_mul_f32_e32 v112, v18, v112                              // 000000022164: 0AE0E112
	v_mul_f32_e32 v113, v18, v113                              // 000000022168: 0AE2E312
	v_mul_f32_e32 v114, v18, v114                              // 00000002216C: 0AE4E512
	v_mul_f32_e32 v115, v18, v115                              // 000000022170: 0AE6E712
	v_mul_f32_e32 v116, v18, v116                              // 000000022174: 0AE8E912
	v_mul_f32_e32 v117, v18, v117                              // 000000022178: 0AEAEB12
	v_mul_f32_e32 v118, v18, v118                              // 00000002217C: 0AECED12
	v_mul_f32_e32 v119, v18, v119                              // 000000022180: 0AEEEF12
	v_mul_f32_e32 v120, v18, v120                              // 000000022184: 0AF0F112
	v_mul_f32_e32 v121, v18, v121                              // 000000022188: 0AF2F312
	v_mul_f32_e32 v122, v18, v122                              // 00000002218C: 0AF4F512
	v_mul_f32_e32 v123, v18, v123                              // 000000022190: 0AF6F712
	v_mul_f32_e32 v124, v18, v124                              // 000000022194: 0AF8F912
	v_mul_f32_e32 v125, v18, v125                              // 000000022198: 0AFAFB12
	v_mul_f32_e32 v126, v18, v126                              // 00000002219C: 0AFCFD12
	v_mul_f32_e32 v127, v18, v127                              // 0000000221A0: 0AFEFF12
	v_mul_f32_dpp v112, v248, v112 quad_perm:[0,0,0,0] row_mask:0xf bank_mask:0xf// 0000000221A4: 0AE0E0FA FF0000F8
	v_mul_f32_dpp v113, v248, v113 quad_perm:[1,1,1,1] row_mask:0xf bank_mask:0xf// 0000000221AC: 0AE2E2FA FF0055F8
	v_mul_f32_dpp v114, v248, v114 quad_perm:[2,2,2,2] row_mask:0xf bank_mask:0xf// 0000000221B4: 0AE4E4FA FF00AAF8
	v_mul_f32_dpp v115, v248, v115 quad_perm:[3,3,3,3] row_mask:0xf bank_mask:0xf// 0000000221BC: 0AE6E6FA FF00FFF8
	v_mul_f32_dpp v116, v249, v116 quad_perm:[0,0,0,0] row_mask:0xf bank_mask:0xf// 0000000221C4: 0AE8E8FA FF0000F9
	v_mul_f32_dpp v117, v249, v117 quad_perm:[1,1,1,1] row_mask:0xf bank_mask:0xf// 0000000221CC: 0AEAEAFA FF0055F9
	v_mul_f32_dpp v118, v249, v118 quad_perm:[2,2,2,2] row_mask:0xf bank_mask:0xf// 0000000221D4: 0AECECFA FF00AAF9
	v_mul_f32_dpp v119, v249, v119 quad_perm:[3,3,3,3] row_mask:0xf bank_mask:0xf// 0000000221DC: 0AEEEEFA FF00FFF9
	v_mul_f32_dpp v120, v250, v120 quad_perm:[0,0,0,0] row_mask:0xf bank_mask:0xf// 0000000221E4: 0AF0F0FA FF0000FA
	v_mul_f32_dpp v121, v250, v121 quad_perm:[1,1,1,1] row_mask:0xf bank_mask:0xf// 0000000221EC: 0AF2F2FA FF0055FA
	v_mul_f32_dpp v122, v250, v122 quad_perm:[2,2,2,2] row_mask:0xf bank_mask:0xf// 0000000221F4: 0AF4F4FA FF00AAFA
	v_mul_f32_dpp v123, v250, v123 quad_perm:[3,3,3,3] row_mask:0xf bank_mask:0xf// 0000000221FC: 0AF6F6FA FF00FFFA
	v_mul_f32_dpp v124, v251, v124 quad_perm:[0,0,0,0] row_mask:0xf bank_mask:0xf// 000000022204: 0AF8F8FA FF0000FB
	v_mul_f32_dpp v125, v251, v125 quad_perm:[1,1,1,1] row_mask:0xf bank_mask:0xf// 00000002220C: 0AFAFAFA FF0055FB
	v_mul_f32_dpp v126, v251, v126 quad_perm:[2,2,2,2] row_mask:0xf bank_mask:0xf// 000000022214: 0AFCFCFA FF00AAFB
	v_mul_f32_dpp v127, v251, v127 quad_perm:[3,3,3,3] row_mask:0xf bank_mask:0xf// 00000002221C: 0AFEFEFA FF00FFFB
	s_and_b32 s60, s72, 0xff                                   // 000000022224: 863CFF48 000000FF
	v_mov_b32_e32 v65, s60                                     // 00000002222C: 7E82023C
	v_lshrrev_b32_e32 v240, 4, v0                              // 000000022230: 21E00084
	v_mul_i32_i24_e32 v240, 4, v240                            // 000000022234: 0DE1E084
	s_mul_i32 s60, s7, 16                                      // 000000022238: 923C9007
	v_add_u32_e32 v240, s60, v240                              // 00000002223C: 69E1E03C
	v_add_u32_e32 v241, 1, v240                                // 000000022240: 69E3E081
	v_add_u32_e32 v242, 2, v240                                // 000000022244: 69E5E082
	v_add_u32_e32 v243, 3, v240                                // 000000022248: 69E7E083
	v_mov_b32_e32 v64, 0xff800000                              // 00000002224C: 7E8002FF FF800000
	v_cmp_lt_u32_e64 s[40:41], v240, v65                       // 000000022254: D0C90028 000283F0
	v_add_u32_e32 v240, 64, v240                               // 00000002225C: 69E1E0C0
	s_nop 0                                                    // 000000022260: BF800000
	v_cndmask_b32_e64 v112, v64, v112, s[40:41]                // 000000022264: D1000070 00A2E140
	v_cmp_lt_u32_e64 s[40:41], v241, v65                       // 00000002226C: D0C90028 000283F1
	v_add_u32_e32 v241, 64, v241                               // 000000022274: 69E3E2C0
	s_nop 0                                                    // 000000022278: BF800000
	v_cndmask_b32_e64 v113, v64, v113, s[40:41]                // 00000002227C: D1000071 00A2E340
	v_cmp_lt_u32_e64 s[40:41], v242, v65                       // 000000022284: D0C90028 000283F2
	v_add_u32_e32 v242, 64, v242                               // 00000002228C: 69E5E4C0
	s_nop 0                                                    // 000000022290: BF800000
	v_cndmask_b32_e64 v114, v64, v114, s[40:41]                // 000000022294: D1000072 00A2E540
	v_cmp_lt_u32_e64 s[40:41], v243, v65                       // 00000002229C: D0C90028 000283F3
	v_add_u32_e32 v243, 64, v243                               // 0000000222A4: 69E7E6C0
	s_nop 0                                                    // 0000000222A8: BF800000
	v_cndmask_b32_e64 v115, v64, v115, s[40:41]                // 0000000222AC: D1000073 00A2E740
	v_cmp_lt_u32_e64 s[40:41], v240, v65                       // 0000000222B4: D0C90028 000283F0
	v_add_u32_e32 v240, 64, v240                               // 0000000222BC: 69E1E0C0
	s_nop 0                                                    // 0000000222C0: BF800000
	v_cndmask_b32_e64 v116, v64, v116, s[40:41]                // 0000000222C4: D1000074 00A2E940
	v_cmp_lt_u32_e64 s[40:41], v241, v65                       // 0000000222CC: D0C90028 000283F1
	v_add_u32_e32 v241, 64, v241                               // 0000000222D4: 69E3E2C0
	s_nop 0                                                    // 0000000222D8: BF800000
	v_cndmask_b32_e64 v117, v64, v117, s[40:41]                // 0000000222DC: D1000075 00A2EB40
	v_cmp_lt_u32_e64 s[40:41], v242, v65                       // 0000000222E4: D0C90028 000283F2
	v_add_u32_e32 v242, 64, v242                               // 0000000222EC: 69E5E4C0
	s_nop 0                                                    // 0000000222F0: BF800000
	v_cndmask_b32_e64 v118, v64, v118, s[40:41]                // 0000000222F4: D1000076 00A2ED40
	v_cmp_lt_u32_e64 s[40:41], v243, v65                       // 0000000222FC: D0C90028 000283F3
	v_add_u32_e32 v243, 64, v243                               // 000000022304: 69E7E6C0
	s_nop 0                                                    // 000000022308: BF800000
	v_cndmask_b32_e64 v119, v64, v119, s[40:41]                // 00000002230C: D1000077 00A2EF40
	v_cmp_lt_u32_e64 s[40:41], v240, v65                       // 000000022314: D0C90028 000283F0
	v_add_u32_e32 v240, 64, v240                               // 00000002231C: 69E1E0C0
	s_nop 0                                                    // 000000022320: BF800000
	v_cndmask_b32_e64 v120, v64, v120, s[40:41]                // 000000022324: D1000078 00A2F140
	v_cmp_lt_u32_e64 s[40:41], v241, v65                       // 00000002232C: D0C90028 000283F1
	v_add_u32_e32 v241, 64, v241                               // 000000022334: 69E3E2C0
	s_nop 0                                                    // 000000022338: BF800000
	v_cndmask_b32_e64 v121, v64, v121, s[40:41]                // 00000002233C: D1000079 00A2F340
	v_cmp_lt_u32_e64 s[40:41], v242, v65                       // 000000022344: D0C90028 000283F2
	v_add_u32_e32 v242, 64, v242                               // 00000002234C: 69E5E4C0
	s_nop 0                                                    // 000000022350: BF800000
	v_cndmask_b32_e64 v122, v64, v122, s[40:41]                // 000000022354: D100007A 00A2F540
	v_cmp_lt_u32_e64 s[40:41], v243, v65                       // 00000002235C: D0C90028 000283F3
	v_add_u32_e32 v243, 64, v243                               // 000000022364: 69E7E6C0
	s_nop 0                                                    // 000000022368: BF800000
	v_cndmask_b32_e64 v123, v64, v123, s[40:41]                // 00000002236C: D100007B 00A2F740
	v_cmp_lt_u32_e64 s[40:41], v240, v65                       // 000000022374: D0C90028 000283F0
	v_add_u32_e32 v240, 64, v240                               // 00000002237C: 69E1E0C0
	s_nop 0                                                    // 000000022380: BF800000
	v_cndmask_b32_e64 v124, v64, v124, s[40:41]                // 000000022384: D100007C 00A2F940
	v_cmp_lt_u32_e64 s[40:41], v241, v65                       // 00000002238C: D0C90028 000283F1
	v_add_u32_e32 v241, 64, v241                               // 000000022394: 69E3E2C0
	s_nop 0                                                    // 000000022398: BF800000
	v_cndmask_b32_e64 v125, v64, v125, s[40:41]                // 00000002239C: D100007D 00A2FB40
	v_cmp_lt_u32_e64 s[40:41], v242, v65                       // 0000000223A4: D0C90028 000283F2
	v_add_u32_e32 v242, 64, v242                               // 0000000223AC: 69E5E4C0
	s_nop 0                                                    // 0000000223B0: BF800000
	v_cndmask_b32_e64 v126, v64, v126, s[40:41]                // 0000000223B4: D100007E 00A2FD40
	v_cmp_lt_u32_e64 s[40:41], v243, v65                       // 0000000223BC: D0C90028 000283F3
	v_add_u32_e32 v243, 64, v243                               // 0000000223C4: 69E7E6C0
	s_nop 0                                                    // 0000000223C8: BF800000
	v_cndmask_b32_e64 v127, v64, v127, s[40:41]                // 0000000223CC: D100007F 00A2FF40
	v_mov_b32_e32 v48, v112                                    // 0000000223D4: 7E600370
	v_max3_f32 v48, v112, v113, v48                            // 0000000223D8: D1D30030 04C2E370
	v_max3_f32 v48, v114, v115, v48                            // 0000000223E0: D1D30030 04C2E772
	v_max3_f32 v48, v116, v117, v48                            // 0000000223E8: D1D30030 04C2EB74
	v_max3_f32 v48, v118, v119, v48                            // 0000000223F0: D1D30030 04C2EF76
	v_max3_f32 v48, v120, v121, v48                            // 0000000223F8: D1D30030 04C2F378
	v_max3_f32 v48, v122, v123, v48                            // 000000022400: D1D30030 04C2F77A
	v_max3_f32 v48, v124, v125, v48                            // 000000022408: D1D30030 04C2FB7C
	v_max3_f32 v48, v126, v127, v48                            // 000000022410: D1D30030 04C2FF7E
	ds_write_b32 v8, v48 offset:16896                          // 000000022418: D81A4200 00003008
	v_mul_u32_u24_dpp v64, v17, v54 row_newbcast:1 row_mask:0xf bank_mask:0xf// 000000022420: 10806CFA FF015111
	v_mul_u32_u24_dpp v65, v17, v54 row_newbcast:5 row_mask:0xf bank_mask:0xf// 000000022428: 10826CFA FF015511
	v_mul_u32_u24_dpp v66, v17, v54 row_newbcast:9 row_mask:0xf bank_mask:0xf// 000000022430: 10846CFA FF015911
	v_mul_u32_u24_dpp v67, v17, v54 row_newbcast:13 row_mask:0xf bank_mask:0xf// 000000022438: 10866CFA FF015D11
	v_add_u32_e32 v34, v64, v6                                 // 000000022440: 68440D40
	v_add_u32_e32 v35, v65, v6                                 // 000000022444: 68460D41
	v_add_u32_e32 v36, v66, v6                                 // 000000022448: 68480D42
	v_add_u32_e32 v37, v67, v6                                 // 00000002244C: 684A0D43
	v_mul_f32_e32 v208, v49, v208                              // 000000022450: 0BA1A131
	v_mul_f32_e32 v209, v49, v209                              // 000000022454: 0BA3A331
	v_mul_f32_e32 v210, v49, v210                              // 000000022458: 0BA5A531
	v_mul_f32_e32 v211, v49, v211                              // 00000002245C: 0BA7A731
	v_mul_f32_e32 v212, v49, v212                              // 000000022460: 0BA9A931
	v_mul_f32_e32 v213, v49, v213                              // 000000022464: 0BABAB31
	v_mul_f32_e32 v214, v49, v214                              // 000000022468: 0BADAD31
	v_mul_f32_e32 v215, v49, v215                              // 00000002246C: 0BAFAF31
	s_waitcnt lgkmcnt(0)                                       // 000000022470: BF8CC07F
	s_barrier                                                  // 000000022474: BF8A0000
	ds_read_b32 v64, v7 offset:16896                           // 000000022478: D86C4200 40000007
	ds_read_b32 v65, v7 offset:16960                           // 000000022480: D86C4240 41000007
	ds_read_b32 v66, v7 offset:17024                           // 000000022488: D86C4280 42000007
	ds_read_b32 v67, v7 offset:17088                           // 000000022490: D86C42C0 43000007
	ds_read_b32 v68, v7 offset:17152                           // 000000022498: D86C4300 44000007
	ds_read_b32 v69, v7 offset:17216                           // 0000000224A0: D86C4340 45000007
	ds_read_b32 v70, v7 offset:17280                           // 0000000224A8: D86C4380 46000007
	ds_read_b32 v71, v7 offset:17344                           // 0000000224B0: D86C43C0 47000007
	ds_read_b32 v72, v7 offset:17408                           // 0000000224B8: D86C4400 48000007
	ds_read_b32 v73, v7 offset:17472                           // 0000000224C0: D86C4440 49000007
	ds_read_b32 v74, v7 offset:17536                           // 0000000224C8: D86C4480 4A000007
	ds_read_b32 v75, v7 offset:17600                           // 0000000224D0: D86C44C0 4B000007
	ds_read_b32 v76, v7 offset:17664                           // 0000000224D8: D86C4500 4C000007
	ds_read_b32 v77, v7 offset:17728                           // 0000000224E0: D86C4540 4D000007
	ds_read_b32 v78, v7 offset:17792                           // 0000000224E8: D86C4580 4E000007
	ds_read_b32 v79, v7 offset:17856                           // 0000000224F0: D86C45C0 4F000007
	v_mul_f32_e32 v176, v44, v176                              // 0000000224F8: 0B61612C
	v_mul_f32_e32 v177, v44, v177                              // 0000000224FC: 0B63632C
	v_mul_f32_e32 v178, v44, v178                              // 000000022500: 0B65652C
	v_mul_f32_e32 v179, v44, v179                              // 000000022504: 0B67672C
	v_mul_f32_e32 v180, v44, v180                              // 000000022508: 0B69692C
	v_mul_f32_e32 v181, v44, v181                              // 00000002250C: 0B6B6B2C
	v_mul_f32_e32 v182, v44, v182                              // 000000022510: 0B6D6D2C
	v_mul_f32_e32 v183, v44, v183                              // 000000022514: 0B6F6F2C
	s_waitcnt lgkmcnt(0)                                       // 000000022518: BF8CC07F
	v_max3_f32 v48, v64, v65, v48                              // 00000002251C: D1D30030 04C28340
	v_max3_f32 v48, v66, v67, v48                              // 000000022524: D1D30030 04C28742
	v_max3_f32 v48, v68, v69, v48                              // 00000002252C: D1D30030 04C28B44
	v_max3_f32 v48, v70, v71, v48                              // 000000022534: D1D30030 04C28F46
	v_max3_f32 v48, v72, v73, v48                              // 00000002253C: D1D30030 04C29348
	v_max3_f32 v48, v74, v75, v48                              // 000000022544: D1D30030 04C2974A
	v_max3_f32 v48, v76, v77, v48                              // 00000002254C: D1D30030 04C29B4C
	v_max3_f32 v48, v78, v79, v48                              // 000000022554: D1D30030 04C29F4E
	v_mov_b32_e32 v64, 0xff800000                              // 00000002255C: 7E8002FF FF800000
	v_cmp_eq_u32_e64 s[40:41], v64, v11                        // 000000022564: D0CA0028 00021740
	s_nop 1                                                    // 00000002256C: BF800001
	v_max_f32_e32 v15, v48, v11                                // 000000022570: 161E1730
	v_mul_f32_e32 v53, s64, v15                                // 000000022574: 0A6A1E40
	v_fma_f32 v112, v112, s64, -v53                            // 000000022578: D1CB0070 84D48170
	v_fma_f32 v113, v113, s64, -v53                            // 000000022580: D1CB0071 84D48171
	v_fma_f32 v114, v114, s64, -v53                            // 000000022588: D1CB0072 84D48172
	v_fma_f32 v115, v115, s64, -v53                            // 000000022590: D1CB0073 84D48173
	v_fma_f32 v116, v116, s64, -v53                            // 000000022598: D1CB0074 84D48174
	v_fma_f32 v117, v117, s64, -v53                            // 0000000225A0: D1CB0075 84D48175
	v_fma_f32 v118, v118, s64, -v53                            // 0000000225A8: D1CB0076 84D48176
	v_fma_f32 v119, v119, s64, -v53                            // 0000000225B0: D1CB0077 84D48177
	v_fma_f32 v120, v120, s64, -v53                            // 0000000225B8: D1CB0078 84D48178
	v_fma_f32 v121, v121, s64, -v53                            // 0000000225C0: D1CB0079 84D48179
	v_fma_f32 v122, v122, s64, -v53                            // 0000000225C8: D1CB007A 84D4817A
	v_fma_f32 v123, v123, s64, -v53                            // 0000000225D0: D1CB007B 84D4817B
	v_fma_f32 v124, v124, s64, -v53                            // 0000000225D8: D1CB007C 84D4817C
	v_fma_f32 v125, v125, s64, -v53                            // 0000000225E0: D1CB007D 84D4817D
	v_fma_f32 v126, v126, s64, -v53                            // 0000000225E8: D1CB007E 84D4817E
	v_fma_f32 v127, v127, s64, -v53                            // 0000000225F0: D1CB007F 84D4817F
	v_exp_f32_e32 v112, v112                                   // 0000000225F8: 7EE04170
	v_exp_f32_e32 v113, v113                                   // 0000000225FC: 7EE24171
	v_exp_f32_e32 v114, v114                                   // 000000022600: 7EE44172
	v_exp_f32_e32 v115, v115                                   // 000000022604: 7EE64173
	v_exp_f32_e32 v116, v116                                   // 000000022608: 7EE84174
	v_exp_f32_e32 v117, v117                                   // 00000002260C: 7EEA4175
	v_exp_f32_e32 v118, v118                                   // 000000022610: 7EEC4176
	v_exp_f32_e32 v119, v119                                   // 000000022614: 7EEE4177
	v_exp_f32_e32 v120, v120                                   // 000000022618: 7EF04178
	v_exp_f32_e32 v121, v121                                   // 00000002261C: 7EF24179
	v_exp_f32_e32 v122, v122                                   // 000000022620: 7EF4417A
	v_exp_f32_e32 v123, v123                                   // 000000022624: 7EF6417B
	v_exp_f32_e32 v124, v124                                   // 000000022628: 7EF8417C
	v_exp_f32_e32 v125, v125                                   // 00000002262C: 7EFA417D
	v_exp_f32_e32 v126, v126                                   // 000000022630: 7EFC417E
	v_exp_f32_e32 v127, v127                                   // 000000022634: 7EFE417F
	v_mul_f32_dpp v240, v252, v112 quad_perm:[0,0,0,0] row_mask:0xf bank_mask:0xf// 000000022638: 0BE0E0FA FF0000FC
	v_mul_f32_dpp v241, v252, v113 quad_perm:[1,1,1,1] row_mask:0xf bank_mask:0xf// 000000022640: 0BE2E2FA FF0055FC
	v_mul_f32_dpp v242, v252, v114 quad_perm:[2,2,2,2] row_mask:0xf bank_mask:0xf// 000000022648: 0BE4E4FA FF00AAFC
	v_mul_f32_dpp v243, v252, v115 quad_perm:[3,3,3,3] row_mask:0xf bank_mask:0xf// 000000022650: 0BE6E6FA FF00FFFC
	v_mul_f32_dpp v244, v253, v116 quad_perm:[0,0,0,0] row_mask:0xf bank_mask:0xf// 000000022658: 0BE8E8FA FF0000FD
	v_mul_f32_dpp v245, v253, v117 quad_perm:[1,1,1,1] row_mask:0xf bank_mask:0xf// 000000022660: 0BEAEAFA FF0055FD
	v_mul_f32_dpp v246, v253, v118 quad_perm:[2,2,2,2] row_mask:0xf bank_mask:0xf// 000000022668: 0BECECFA FF00AAFD
	v_mul_f32_dpp v247, v253, v119 quad_perm:[3,3,3,3] row_mask:0xf bank_mask:0xf// 000000022670: 0BEEEEFA FF00FFFD
	v_mul_f32_dpp v248, v254, v120 quad_perm:[0,0,0,0] row_mask:0xf bank_mask:0xf// 000000022678: 0BF0F0FA FF0000FE
	v_mul_f32_dpp v249, v254, v121 quad_perm:[1,1,1,1] row_mask:0xf bank_mask:0xf// 000000022680: 0BF2F2FA FF0055FE
	v_mul_f32_dpp v250, v254, v122 quad_perm:[2,2,2,2] row_mask:0xf bank_mask:0xf// 000000022688: 0BF4F4FA FF00AAFE
	v_mul_f32_dpp v251, v254, v123 quad_perm:[3,3,3,3] row_mask:0xf bank_mask:0xf// 000000022690: 0BF6F6FA FF00FFFE
	v_mul_f32_dpp v252, v255, v124 quad_perm:[0,0,0,0] row_mask:0xf bank_mask:0xf// 000000022698: 0BF8F8FA FF0000FF
	v_mul_f32_dpp v253, v255, v125 quad_perm:[1,1,1,1] row_mask:0xf bank_mask:0xf// 0000000226A0: 0BFAFAFA FF0055FF
	v_mul_f32_dpp v254, v255, v126 quad_perm:[2,2,2,2] row_mask:0xf bank_mask:0xf// 0000000226A8: 0BFCFCFA FF00AAFF
	v_mul_f32_dpp v255, v255, v127 quad_perm:[3,3,3,3] row_mask:0xf bank_mask:0xf// 0000000226B0: 0BFEFEFA FF00FFFF
	v_mov_b32_e32 v48, 0x358637bd                              // 0000000226B8: 7E6002FF 358637BD
	v_max3_f32 v48, |v240|, |v241|, v48                        // 0000000226C0: D1D30330 04C3E3F0
	v_max3_f32 v48, |v242|, |v243|, v48                        // 0000000226C8: D1D30330 04C3E7F2
	v_max3_f32 v48, |v244|, |v245|, v48                        // 0000000226D0: D1D30330 04C3EBF4
	v_max3_f32 v48, |v246|, |v247|, v48                        // 0000000226D8: D1D30330 04C3EFF6
	v_max3_f32 v48, |v248|, |v249|, v48                        // 0000000226E0: D1D30330 04C3F3F8
	v_max3_f32 v48, |v250|, |v251|, v48                        // 0000000226E8: D1D30330 04C3F7FA
	v_max3_f32 v48, |v252|, |v253|, v48                        // 0000000226F0: D1D30330 04C3FBFC
	v_max3_f32 v48, |v254|, |v255|, v48                        // 0000000226F8: D1D30330 04C3FFFE
	ds_write_b32 v8, v48 offset:20992                          // 000000022700: D81A5200 00003008
	v_sub_f32_e32 v49, v11, v15                                // 000000022708: 04621F0B
	v_cndmask_b32_e64 v49, v49, 0, s[40:41]                    // 00000002270C: D1000031 00A10131
	v_mov_b32_e32 v11, v15                                     // 000000022714: 7E16030F
	v_mul_f32_e32 v49, s64, v49                                // 000000022718: 0A626240
	v_exp_f32_e32 v49, v49                                     // 00000002271C: 7E624131
	s_waitcnt lgkmcnt(0)                                       // 000000022720: BF8CC07F
	s_barrier                                                  // 000000022724: BF8A0000
	ds_read_b32 v64, v7 offset:20992                           // 000000022728: D86C5200 40000007
	ds_read_b32 v65, v7 offset:21056                           // 000000022730: D86C5240 41000007
	ds_read_b32 v66, v7 offset:21120                           // 000000022738: D86C5280 42000007
	ds_read_b32 v67, v7 offset:21184                           // 000000022740: D86C52C0 43000007
	ds_read_b32 v68, v7 offset:21248                           // 000000022748: D86C5300 44000007
	ds_read_b32 v69, v7 offset:21312                           // 000000022750: D86C5340 45000007
	ds_read_b32 v70, v7 offset:21376                           // 000000022758: D86C5380 46000007
	ds_read_b32 v71, v7 offset:21440                           // 000000022760: D86C53C0 47000007
	ds_read_b32 v72, v7 offset:21504                           // 000000022768: D86C5400 48000007
	ds_read_b32 v73, v7 offset:21568                           // 000000022770: D86C5440 49000007
	ds_read_b32 v74, v7 offset:21632                           // 000000022778: D86C5480 4A000007
	ds_read_b32 v75, v7 offset:21696                           // 000000022780: D86C54C0 4B000007
	ds_read_b32 v76, v7 offset:21760                           // 000000022788: D86C5500 4C000007
	ds_read_b32 v77, v7 offset:21824                           // 000000022790: D86C5540 4D000007
	ds_read_b32 v78, v7 offset:21888                           // 000000022798: D86C5580 4E000007
	ds_read_b32 v79, v7 offset:21952                           // 0000000227A0: D86C55C0 4F000007
	v_mul_f32_e32 v38, v49, v38                                // 0000000227A8: 0A4C4D31
	v_mov_b32_e32 v15, v112                                    // 0000000227AC: 7E1E0370
	v_add_f32_e32 v15, v113, v15                               // 0000000227B0: 021E1F71
	v_add_f32_e32 v15, v114, v15                               // 0000000227B4: 021E1F72
	v_add_f32_e32 v15, v115, v15                               // 0000000227B8: 021E1F73
	v_add_f32_e32 v15, v116, v15                               // 0000000227BC: 021E1F74
	v_add_f32_e32 v15, v117, v15                               // 0000000227C0: 021E1F75
	v_add_f32_e32 v15, v118, v15                               // 0000000227C4: 021E1F76
	v_add_f32_e32 v15, v119, v15                               // 0000000227C8: 021E1F77
	v_add_f32_e32 v15, v120, v15                               // 0000000227CC: 021E1F78
	v_add_f32_e32 v15, v121, v15                               // 0000000227D0: 021E1F79
	v_add_f32_e32 v15, v122, v15                               // 0000000227D4: 021E1F7A
	v_add_f32_e32 v15, v123, v15                               // 0000000227D8: 021E1F7B
	v_add_f32_e32 v15, v124, v15                               // 0000000227DC: 021E1F7C
	v_add_f32_e32 v15, v125, v15                               // 0000000227E0: 021E1F7D
	v_add_f32_e32 v15, v126, v15                               // 0000000227E4: 021E1F7E
	v_add_f32_e32 v15, v127, v15                               // 0000000227E8: 021E1F7F
	v_add_f32_e32 v38, v15, v38                                // 0000000227EC: 024C4D0F
	s_waitcnt lgkmcnt(0)                                       // 0000000227F0: BF8CC07F
	v_max3_f32 v48, |v64|, |v65|, v48                          // 0000000227F4: D1D30330 04C28340
	v_max3_f32 v48, |v66|, |v67|, v48                          // 0000000227FC: D1D30330 04C28742
	v_max3_f32 v48, |v68|, |v69|, v48                          // 000000022804: D1D30330 04C28B44
	v_max3_f32 v48, |v70|, |v71|, v48                          // 00000002280C: D1D30330 04C28F46
	v_max3_f32 v48, |v72|, |v73|, v48                          // 000000022814: D1D30330 04C29348
	v_max3_f32 v48, |v74|, |v75|, v48                          // 00000002281C: D1D30330 04C2974A
	v_max3_f32 v48, |v76|, |v77|, v48                          // 000000022824: D1D30330 04C29B4C
	v_max3_f32 v48, |v78|, |v79|, v48                          // 00000002282C: D1D30330 04C29F4E
	s_nop 2                                                    // 000000022834: BF800002
	v_rcp_f32_e32 v48, v48                                     // 000000022838: 7E604530
	s_nop 1                                                    // 00000002283C: BF800001
	v_mul_f32_e32 v48, 0x43e00000, v48                         // 000000022840: 0A6060FF 43E00000
	v_mul_f32_e32 v112, v48, v240                              // 000000022848: 0AE1E130
	v_mul_f32_e32 v113, v48, v241                              // 00000002284C: 0AE3E330
	v_mul_f32_e32 v114, v48, v242                              // 000000022850: 0AE5E530
	v_mul_f32_e32 v115, v48, v243                              // 000000022854: 0AE7E730
	v_mul_f32_e32 v116, v48, v244                              // 000000022858: 0AE9E930
	v_mul_f32_e32 v117, v48, v245                              // 00000002285C: 0AEBEB30
	v_mul_f32_e32 v118, v48, v246                              // 000000022860: 0AEDED30
	v_mul_f32_e32 v119, v48, v247                              // 000000022864: 0AEFEF30
	v_mul_f32_e32 v120, v48, v248                              // 000000022868: 0AF1F130
	v_mul_f32_e32 v121, v48, v249                              // 00000002286C: 0AF3F330
	v_mul_f32_e32 v122, v48, v250                              // 000000022870: 0AF5F530
	v_mul_f32_e32 v123, v48, v251                              // 000000022874: 0AF7F730
	v_mul_f32_e32 v124, v48, v252                              // 000000022878: 0AF9F930
	v_mul_f32_e32 v125, v48, v253                              // 00000002287C: 0AFBFB30
	v_mul_f32_e32 v126, v48, v254                              // 000000022880: 0AFDFD30
	v_mul_f32_e32 v127, v48, v255                              // 000000022884: 0AFFFF30
	v_cvt_pk_fp8_f32 v112, v112, v113                          // 000000022888: D2A20070 0002E370
	v_cvt_pk_fp8_f32 v112, v114, v115 op_sel:[0,0,1]           // 000000022890: D2A24070 0002E772
	v_cvt_pk_fp8_f32 v113, v116, v117                          // 000000022898: D2A20071 0002EB74
	v_cvt_pk_fp8_f32 v113, v118, v119 op_sel:[0,0,1]           // 0000000228A0: D2A24071 0002EF76
	v_cvt_pk_fp8_f32 v114, v120, v121                          // 0000000228A8: D2A20072 0002F378
	v_cvt_pk_fp8_f32 v114, v122, v123 op_sel:[0,0,1]           // 0000000228B0: D2A24072 0002F77A
	v_cvt_pk_fp8_f32 v115, v124, v125                          // 0000000228B8: D2A20073 0002FB7C
	v_cvt_pk_fp8_f32 v115, v126, v127 op_sel:[0,0,1]           // 0000000228C0: D2A24073 0002FF7E
	ds_write_b32 v10, v112 offset:25088                        // 0000000228C8: D81A6200 0000700A
	ds_write_b32 v10, v113 offset:26112                        // 0000000228D0: D81A6600 0000710A
	ds_write_b32 v10, v114 offset:27136                        // 0000000228D8: D81A6A00 0000720A
	ds_write_b32 v10, v115 offset:28160                        // 0000000228E0: D81A6E00 0000730A
	v_add_f32_e32 v208, v208, v176                             // 0000000228E8: 03A161D0
	v_add_f32_e32 v209, v209, v177                             // 0000000228EC: 03A363D1
	v_add_f32_e32 v210, v210, v178                             // 0000000228F0: 03A565D2
	v_add_f32_e32 v211, v211, v179                             // 0000000228F4: 03A767D3
	v_add_f32_e32 v212, v212, v180                             // 0000000228F8: 03A969D4
	v_add_f32_e32 v213, v213, v181                             // 0000000228FC: 03AB6BD5
	v_add_f32_e32 v214, v214, v182                             // 000000022900: 03AD6DD6
	v_add_f32_e32 v215, v215, v183                             // 000000022904: 03AF6FD7
	v_rcp_f32_e32 v44, v48                                     // 000000022908: 7E584530
	s_waitcnt lgkmcnt(0)                                       // 00000002290C: BF8CC07F
	s_barrier                                                  // 000000022910: BF8A0000
	ds_read_b64 v[112:113], v9 offset:25088                    // 000000022914: D8EC6200 70000009
	ds_read_b64 v[114:115], v9 offset:25216                    // 00000002291C: D8EC6280 72000009
	ds_read_b64 v[116:117], v9 offset:26112                    // 000000022924: D8EC6600 74000009
	ds_read_b64 v[118:119], v9 offset:26240                    // 00000002292C: D8EC6680 76000009
	ds_read_b64 v[120:121], v9 offset:27136                    // 000000022934: D8EC6A00 78000009
	ds_read_b64 v[122:123], v9 offset:27264                    // 00000002293C: D8EC6A80 7A000009
	ds_read_b64 v[124:125], v9 offset:28160                    // 000000022944: D8EC6E00 7C000009
	ds_read_b64 v[126:127], v9 offset:28288                    // 00000002294C: D8EC6E80 7E000009
	v_mov_b32_dpp v64, v42 row_shr:4 row_mask:0xf bank_mask:0xf// 000000022954: 7E8002FA FF01142A
	v_mov_b32_dpp v65, v42 row_shl:4 row_mask:0xf bank_mask:0xf// 00000002295C: 7E8202FA FF01042A
	v_cndmask_b32_e64 v248, v42, v64, s[44:45]                 // 000000022964: D10000F8 00B2812A
	v_cndmask_b32_e64 v249, v65, v42, s[44:45]                 // 00000002296C: D10000F9 00B25541
	v_mov_b32_dpp v64, v248 row_shr:8 row_mask:0xf bank_mask:0xf// 000000022974: 7E8002FA FF0118F8
	v_mov_b32_dpp v65, v248 row_shl:8 row_mask:0xf bank_mask:0xf// 00000002297C: 7E8202FA FF0108F8
	v_mov_b32_dpp v66, v249 row_shr:8 row_mask:0xf bank_mask:0xf// 000000022984: 7E8402FA FF0118F9
	v_mov_b32_dpp v67, v249 row_shl:8 row_mask:0xf bank_mask:0xf// 00000002298C: 7E8602FA FF0108F9
	v_mov_b32_e32 v68, v248                                    // 000000022994: 7E8803F8
	v_mov_b32_e32 v69, v249                                    // 000000022998: 7E8A03F9
	v_cndmask_b32_e64 v248, v68, v64, s[42:43]                 // 00000002299C: D10000F8 00AA8144
	v_cndmask_b32_e64 v250, v68, v65, s[78:79]                 // 0000000229A4: D10000FA 013A8344
	v_cndmask_b32_e64 v249, v69, v66, s[42:43]                 // 0000000229AC: D10000F9 00AA8545
	v_cndmask_b32_e64 v251, v69, v67, s[78:79]                 // 0000000229B4: D10000FB 013A8745
	v_mov_b32_dpp v64, v57 row_shr:4 row_mask:0xf bank_mask:0xf// 0000000229BC: 7E8002FA FF011439
	v_mov_b32_dpp v65, v57 row_shl:4 row_mask:0xf bank_mask:0xf// 0000000229C4: 7E8202FA FF010439
	v_cndmask_b32_e64 v252, v57, v64, s[44:45]                 // 0000000229CC: D10000FC 00B28139
	v_cndmask_b32_e64 v253, v65, v57, s[44:45]                 // 0000000229D4: D10000FD 00B27341
	v_mov_b32_dpp v64, v252 row_shr:8 row_mask:0xf bank_mask:0xf// 0000000229DC: 7E8002FA FF0118FC
	v_mov_b32_dpp v65, v252 row_shl:8 row_mask:0xf bank_mask:0xf// 0000000229E4: 7E8202FA FF0108FC
	v_mov_b32_dpp v66, v253 row_shr:8 row_mask:0xf bank_mask:0xf// 0000000229EC: 7E8402FA FF0118FD
	v_mov_b32_dpp v67, v253 row_shl:8 row_mask:0xf bank_mask:0xf// 0000000229F4: 7E8602FA FF0108FD
	v_mov_b32_e32 v68, v252                                    // 0000000229FC: 7E8803FC
	v_mov_b32_e32 v69, v253                                    // 000000022A00: 7E8A03FD
	v_cndmask_b32_e64 v252, v68, v64, s[42:43]                 // 000000022A04: D10000FC 00AA8144
	v_cndmask_b32_e64 v254, v68, v65, s[78:79]                 // 000000022A0C: D10000FE 013A8344
	v_cndmask_b32_e64 v253, v69, v66, s[42:43]                 // 000000022A14: D10000FD 00AA8545
	v_cndmask_b32_e64 v255, v69, v67, s[78:79]                 // 000000022A1C: D10000FF 013A8745
	v_mul_f32_e32 v128, v19, v128                              // 000000022A24: 0B010113
	v_mul_f32_e32 v129, v19, v129                              // 000000022A28: 0B030313
	v_mul_f32_e32 v130, v19, v130                              // 000000022A2C: 0B050513
	v_mul_f32_e32 v131, v19, v131                              // 000000022A30: 0B070713
	v_mul_f32_e32 v132, v19, v132                              // 000000022A34: 0B090913
	v_mul_f32_e32 v133, v19, v133                              // 000000022A38: 0B0B0B13
	v_mul_f32_e32 v134, v19, v134                              // 000000022A3C: 0B0D0D13
	v_mul_f32_e32 v135, v19, v135                              // 000000022A40: 0B0F0F13
	v_mul_f32_e32 v136, v19, v136                              // 000000022A44: 0B111113
	v_mul_f32_e32 v137, v19, v137                              // 000000022A48: 0B131313
	v_mul_f32_e32 v138, v19, v138                              // 000000022A4C: 0B151513
	v_mul_f32_e32 v139, v19, v139                              // 000000022A50: 0B171713
	v_mul_f32_e32 v140, v19, v140                              // 000000022A54: 0B191913
	v_mul_f32_e32 v141, v19, v141                              // 000000022A58: 0B1B1B13
	v_mul_f32_e32 v142, v19, v142                              // 000000022A5C: 0B1D1D13
	v_mul_f32_e32 v143, v19, v143                              // 000000022A60: 0B1F1F13
	v_mul_f32_dpp v128, v248, v128 quad_perm:[0,0,0,0] row_mask:0xf bank_mask:0xf// 000000022A64: 0B0100FA FF0000F8
	v_mul_f32_dpp v129, v248, v129 quad_perm:[1,1,1,1] row_mask:0xf bank_mask:0xf// 000000022A6C: 0B0302FA FF0055F8
	v_mul_f32_dpp v130, v248, v130 quad_perm:[2,2,2,2] row_mask:0xf bank_mask:0xf// 000000022A74: 0B0504FA FF00AAF8
	v_mul_f32_dpp v131, v248, v131 quad_perm:[3,3,3,3] row_mask:0xf bank_mask:0xf// 000000022A7C: 0B0706FA FF00FFF8
	v_mul_f32_dpp v132, v249, v132 quad_perm:[0,0,0,0] row_mask:0xf bank_mask:0xf// 000000022A84: 0B0908FA FF0000F9
	v_mul_f32_dpp v133, v249, v133 quad_perm:[1,1,1,1] row_mask:0xf bank_mask:0xf// 000000022A8C: 0B0B0AFA FF0055F9
	v_mul_f32_dpp v134, v249, v134 quad_perm:[2,2,2,2] row_mask:0xf bank_mask:0xf// 000000022A94: 0B0D0CFA FF00AAF9
	v_mul_f32_dpp v135, v249, v135 quad_perm:[3,3,3,3] row_mask:0xf bank_mask:0xf// 000000022A9C: 0B0F0EFA FF00FFF9
	v_mul_f32_dpp v136, v250, v136 quad_perm:[0,0,0,0] row_mask:0xf bank_mask:0xf// 000000022AA4: 0B1110FA FF0000FA
	v_mul_f32_dpp v137, v250, v137 quad_perm:[1,1,1,1] row_mask:0xf bank_mask:0xf// 000000022AAC: 0B1312FA FF0055FA
	v_mul_f32_dpp v138, v250, v138 quad_perm:[2,2,2,2] row_mask:0xf bank_mask:0xf// 000000022AB4: 0B1514FA FF00AAFA
	v_mul_f32_dpp v139, v250, v139 quad_perm:[3,3,3,3] row_mask:0xf bank_mask:0xf// 000000022ABC: 0B1716FA FF00FFFA
	v_mul_f32_dpp v140, v251, v140 quad_perm:[0,0,0,0] row_mask:0xf bank_mask:0xf// 000000022AC4: 0B1918FA FF0000FB
	v_mul_f32_dpp v141, v251, v141 quad_perm:[1,1,1,1] row_mask:0xf bank_mask:0xf// 000000022ACC: 0B1B1AFA FF0055FB
	v_mul_f32_dpp v142, v251, v142 quad_perm:[2,2,2,2] row_mask:0xf bank_mask:0xf// 000000022AD4: 0B1D1CFA FF00AAFB
	v_mul_f32_dpp v143, v251, v143 quad_perm:[3,3,3,3] row_mask:0xf bank_mask:0xf// 000000022ADC: 0B1F1EFA FF00FFFB
	s_and_b32 s60, s72, 0xff                                   // 000000022AE4: 863CFF48 000000FF
	v_mov_b32_e32 v65, s60                                     // 000000022AEC: 7E82023C
	v_lshrrev_b32_e32 v240, 4, v0                              // 000000022AF0: 21E00084
	v_mul_i32_i24_e32 v240, 4, v240                            // 000000022AF4: 0DE1E084
	s_mul_i32 s60, s7, 16                                      // 000000022AF8: 923C9007
	v_add_u32_e32 v240, s60, v240                              // 000000022AFC: 69E1E03C
	v_add_u32_e32 v241, 1, v240                                // 000000022B00: 69E3E081
	v_add_u32_e32 v242, 2, v240                                // 000000022B04: 69E5E082
	v_add_u32_e32 v243, 3, v240                                // 000000022B08: 69E7E083
	v_mov_b32_e32 v64, 0xff800000                              // 000000022B0C: 7E8002FF FF800000
	v_cmp_lt_u32_e64 s[40:41], v240, v65                       // 000000022B14: D0C90028 000283F0
	v_add_u32_e32 v240, 64, v240                               // 000000022B1C: 69E1E0C0
	s_nop 0                                                    // 000000022B20: BF800000
	v_cndmask_b32_e64 v128, v64, v128, s[40:41]                // 000000022B24: D1000080 00A30140
	v_cmp_lt_u32_e64 s[40:41], v241, v65                       // 000000022B2C: D0C90028 000283F1
	v_add_u32_e32 v241, 64, v241                               // 000000022B34: 69E3E2C0
	s_nop 0                                                    // 000000022B38: BF800000
	v_cndmask_b32_e64 v129, v64, v129, s[40:41]                // 000000022B3C: D1000081 00A30340
	v_cmp_lt_u32_e64 s[40:41], v242, v65                       // 000000022B44: D0C90028 000283F2
	v_add_u32_e32 v242, 64, v242                               // 000000022B4C: 69E5E4C0
	s_nop 0                                                    // 000000022B50: BF800000
	v_cndmask_b32_e64 v130, v64, v130, s[40:41]                // 000000022B54: D1000082 00A30540
	v_cmp_lt_u32_e64 s[40:41], v243, v65                       // 000000022B5C: D0C90028 000283F3
	v_add_u32_e32 v243, 64, v243                               // 000000022B64: 69E7E6C0
	s_nop 0                                                    // 000000022B68: BF800000
	v_cndmask_b32_e64 v131, v64, v131, s[40:41]                // 000000022B6C: D1000083 00A30740
	v_cmp_lt_u32_e64 s[40:41], v240, v65                       // 000000022B74: D0C90028 000283F0
	v_add_u32_e32 v240, 64, v240                               // 000000022B7C: 69E1E0C0
	s_nop 0                                                    // 000000022B80: BF800000
	v_cndmask_b32_e64 v132, v64, v132, s[40:41]                // 000000022B84: D1000084 00A30940
	v_cmp_lt_u32_e64 s[40:41], v241, v65                       // 000000022B8C: D0C90028 000283F1
	v_add_u32_e32 v241, 64, v241                               // 000000022B94: 69E3E2C0
	s_nop 0                                                    // 000000022B98: BF800000
	v_cndmask_b32_e64 v133, v64, v133, s[40:41]                // 000000022B9C: D1000085 00A30B40
	v_cmp_lt_u32_e64 s[40:41], v242, v65                       // 000000022BA4: D0C90028 000283F2
	v_add_u32_e32 v242, 64, v242                               // 000000022BAC: 69E5E4C0
	s_nop 0                                                    // 000000022BB0: BF800000
	v_cndmask_b32_e64 v134, v64, v134, s[40:41]                // 000000022BB4: D1000086 00A30D40
	v_cmp_lt_u32_e64 s[40:41], v243, v65                       // 000000022BBC: D0C90028 000283F3
	v_add_u32_e32 v243, 64, v243                               // 000000022BC4: 69E7E6C0
	s_nop 0                                                    // 000000022BC8: BF800000
	v_cndmask_b32_e64 v135, v64, v135, s[40:41]                // 000000022BCC: D1000087 00A30F40
	v_cmp_lt_u32_e64 s[40:41], v240, v65                       // 000000022BD4: D0C90028 000283F0
	v_add_u32_e32 v240, 64, v240                               // 000000022BDC: 69E1E0C0
	s_nop 0                                                    // 000000022BE0: BF800000
	v_cndmask_b32_e64 v136, v64, v136, s[40:41]                // 000000022BE4: D1000088 00A31140
	v_cmp_lt_u32_e64 s[40:41], v241, v65                       // 000000022BEC: D0C90028 000283F1
	v_add_u32_e32 v241, 64, v241                               // 000000022BF4: 69E3E2C0
	s_nop 0                                                    // 000000022BF8: BF800000
	v_cndmask_b32_e64 v137, v64, v137, s[40:41]                // 000000022BFC: D1000089 00A31340
	v_cmp_lt_u32_e64 s[40:41], v242, v65                       // 000000022C04: D0C90028 000283F2
	v_add_u32_e32 v242, 64, v242                               // 000000022C0C: 69E5E4C0
	s_nop 0                                                    // 000000022C10: BF800000
	v_cndmask_b32_e64 v138, v64, v138, s[40:41]                // 000000022C14: D100008A 00A31540
	v_cmp_lt_u32_e64 s[40:41], v243, v65                       // 000000022C1C: D0C90028 000283F3
	v_add_u32_e32 v243, 64, v243                               // 000000022C24: 69E7E6C0
	s_nop 0                                                    // 000000022C28: BF800000
	v_cndmask_b32_e64 v139, v64, v139, s[40:41]                // 000000022C2C: D100008B 00A31740
	v_cmp_lt_u32_e64 s[40:41], v240, v65                       // 000000022C34: D0C90028 000283F0
	v_add_u32_e32 v240, 64, v240                               // 000000022C3C: 69E1E0C0
	s_nop 0                                                    // 000000022C40: BF800000
	v_cndmask_b32_e64 v140, v64, v140, s[40:41]                // 000000022C44: D100008C 00A31940
	v_cmp_lt_u32_e64 s[40:41], v241, v65                       // 000000022C4C: D0C90028 000283F1
	v_add_u32_e32 v241, 64, v241                               // 000000022C54: 69E3E2C0
	s_nop 0                                                    // 000000022C58: BF800000
	v_cndmask_b32_e64 v141, v64, v141, s[40:41]                // 000000022C5C: D100008D 00A31B40
	v_cmp_lt_u32_e64 s[40:41], v242, v65                       // 000000022C64: D0C90028 000283F2
	v_add_u32_e32 v242, 64, v242                               // 000000022C6C: 69E5E4C0
	s_nop 0                                                    // 000000022C70: BF800000
	v_cndmask_b32_e64 v142, v64, v142, s[40:41]                // 000000022C74: D100008E 00A31D40
	v_cmp_lt_u32_e64 s[40:41], v243, v65                       // 000000022C7C: D0C90028 000283F3
	v_add_u32_e32 v243, 64, v243                               // 000000022C84: 69E7E6C0
	s_nop 0                                                    // 000000022C88: BF800000
	v_cndmask_b32_e64 v143, v64, v143, s[40:41]                // 000000022C8C: D100008F 00A31F40
	v_mov_b32_e32 v48, v128                                    // 000000022C94: 7E600380
	v_max3_f32 v48, v128, v129, v48                            // 000000022C98: D1D30030 04C30380
	v_max3_f32 v48, v130, v131, v48                            // 000000022CA0: D1D30030 04C30782
	v_max3_f32 v48, v132, v133, v48                            // 000000022CA8: D1D30030 04C30B84
	v_max3_f32 v48, v134, v135, v48                            // 000000022CB0: D1D30030 04C30F86
	v_max3_f32 v48, v136, v137, v48                            // 000000022CB8: D1D30030 04C31388
	v_max3_f32 v48, v138, v139, v48                            // 000000022CC0: D1D30030 04C3178A
	v_max3_f32 v48, v140, v141, v48                            // 000000022CC8: D1D30030 04C31B8C
	v_max3_f32 v48, v142, v143, v48                            // 000000022CD0: D1D30030 04C31F8E
	ds_write_b32 v8, v48 offset:16896                          // 000000022CD8: D81A4200 00003008
	v_mul_f32_e32 v216, v50, v216                              // 000000022CE0: 0BB1B132
	v_mul_f32_e32 v217, v50, v217                              // 000000022CE4: 0BB3B332
	v_mul_f32_e32 v218, v50, v218                              // 000000022CE8: 0BB5B532
	v_mul_f32_e32 v219, v50, v219                              // 000000022CEC: 0BB7B732
	v_mul_f32_e32 v220, v50, v220                              // 000000022CF0: 0BB9B932
	v_mul_f32_e32 v221, v50, v221                              // 000000022CF4: 0BBBBB32
	v_mul_f32_e32 v222, v50, v222                              // 000000022CF8: 0BBDBD32
	v_mul_f32_e32 v223, v50, v223                              // 000000022CFC: 0BBFBF32
	s_waitcnt lgkmcnt(0)                                       // 000000022D00: BF8CC07F
	s_barrier                                                  // 000000022D04: BF8A0000
	ds_read_b32 v64, v7 offset:16896                           // 000000022D08: D86C4200 40000007
	ds_read_b32 v65, v7 offset:16960                           // 000000022D10: D86C4240 41000007
	ds_read_b32 v66, v7 offset:17024                           // 000000022D18: D86C4280 42000007
	ds_read_b32 v67, v7 offset:17088                           // 000000022D20: D86C42C0 43000007
	ds_read_b32 v68, v7 offset:17152                           // 000000022D28: D86C4300 44000007
	ds_read_b32 v69, v7 offset:17216                           // 000000022D30: D86C4340 45000007
	ds_read_b32 v70, v7 offset:17280                           // 000000022D38: D86C4380 46000007
	ds_read_b32 v71, v7 offset:17344                           // 000000022D40: D86C43C0 47000007
	ds_read_b32 v72, v7 offset:17408                           // 000000022D48: D86C4400 48000007
	ds_read_b32 v73, v7 offset:17472                           // 000000022D50: D86C4440 49000007
	ds_read_b32 v74, v7 offset:17536                           // 000000022D58: D86C4480 4A000007
	ds_read_b32 v75, v7 offset:17600                           // 000000022D60: D86C44C0 4B000007
	ds_read_b32 v76, v7 offset:17664                           // 000000022D68: D86C4500 4C000007
	ds_read_b32 v77, v7 offset:17728                           // 000000022D70: D86C4540 4D000007
	ds_read_b32 v78, v7 offset:17792                           // 000000022D78: D86C4580 4E000007
	ds_read_b32 v79, v7 offset:17856                           // 000000022D80: D86C45C0 4F000007
	v_mul_f32_e32 v184, v45, v184                              // 000000022D88: 0B71712D
	v_mul_f32_e32 v185, v45, v185                              // 000000022D8C: 0B73732D
	v_mul_f32_e32 v186, v45, v186                              // 000000022D90: 0B75752D
	v_mul_f32_e32 v187, v45, v187                              // 000000022D94: 0B77772D
	v_mul_f32_e32 v188, v45, v188                              // 000000022D98: 0B79792D
	v_mul_f32_e32 v189, v45, v189                              // 000000022D9C: 0B7B7B2D
	v_mul_f32_e32 v190, v45, v190                              // 000000022DA0: 0B7D7D2D
	v_mul_f32_e32 v191, v45, v191                              // 000000022DA4: 0B7F7F2D
	s_waitcnt lgkmcnt(0)                                       // 000000022DA8: BF8CC07F
	v_max3_f32 v48, v64, v65, v48                              // 000000022DAC: D1D30030 04C28340
	v_max3_f32 v48, v66, v67, v48                              // 000000022DB4: D1D30030 04C28742
	v_max3_f32 v48, v68, v69, v48                              // 000000022DBC: D1D30030 04C28B44
	v_max3_f32 v48, v70, v71, v48                              // 000000022DC4: D1D30030 04C28F46
	v_max3_f32 v48, v72, v73, v48                              // 000000022DCC: D1D30030 04C29348
	v_max3_f32 v48, v74, v75, v48                              // 000000022DD4: D1D30030 04C2974A
	v_max3_f32 v48, v76, v77, v48                              // 000000022DDC: D1D30030 04C29B4C
	v_max3_f32 v48, v78, v79, v48                              // 000000022DE4: D1D30030 04C29F4E
	v_mov_b32_e32 v64, 0xff800000                              // 000000022DEC: 7E8002FF FF800000
	v_cmp_eq_u32_e64 s[40:41], v64, v12                        // 000000022DF4: D0CA0028 00021940
	s_nop 1                                                    // 000000022DFC: BF800001
	v_max_f32_e32 v15, v48, v12                                // 000000022E00: 161E1930
	v_mul_f32_e32 v53, s64, v15                                // 000000022E04: 0A6A1E40
	v_fma_f32 v128, v128, s64, -v53                            // 000000022E08: D1CB0080 84D48180
	v_fma_f32 v129, v129, s64, -v53                            // 000000022E10: D1CB0081 84D48181
	v_fma_f32 v130, v130, s64, -v53                            // 000000022E18: D1CB0082 84D48182
	v_fma_f32 v131, v131, s64, -v53                            // 000000022E20: D1CB0083 84D48183
	v_fma_f32 v132, v132, s64, -v53                            // 000000022E28: D1CB0084 84D48184
	v_fma_f32 v133, v133, s64, -v53                            // 000000022E30: D1CB0085 84D48185
	v_fma_f32 v134, v134, s64, -v53                            // 000000022E38: D1CB0086 84D48186
	v_fma_f32 v135, v135, s64, -v53                            // 000000022E40: D1CB0087 84D48187
	v_fma_f32 v136, v136, s64, -v53                            // 000000022E48: D1CB0088 84D48188
	v_fma_f32 v137, v137, s64, -v53                            // 000000022E50: D1CB0089 84D48189
	v_fma_f32 v138, v138, s64, -v53                            // 000000022E58: D1CB008A 84D4818A
	v_fma_f32 v139, v139, s64, -v53                            // 000000022E60: D1CB008B 84D4818B
	v_fma_f32 v140, v140, s64, -v53                            // 000000022E68: D1CB008C 84D4818C
	v_fma_f32 v141, v141, s64, -v53                            // 000000022E70: D1CB008D 84D4818D
	v_fma_f32 v142, v142, s64, -v53                            // 000000022E78: D1CB008E 84D4818E
	v_fma_f32 v143, v143, s64, -v53                            // 000000022E80: D1CB008F 84D4818F
	v_exp_f32_e32 v128, v128                                   // 000000022E88: 7F004180
	v_exp_f32_e32 v129, v129                                   // 000000022E8C: 7F024181
	v_exp_f32_e32 v130, v130                                   // 000000022E90: 7F044182
	v_exp_f32_e32 v131, v131                                   // 000000022E94: 7F064183
	v_exp_f32_e32 v132, v132                                   // 000000022E98: 7F084184
	v_exp_f32_e32 v133, v133                                   // 000000022E9C: 7F0A4185
	v_exp_f32_e32 v134, v134                                   // 000000022EA0: 7F0C4186
	v_exp_f32_e32 v135, v135                                   // 000000022EA4: 7F0E4187
	v_exp_f32_e32 v136, v136                                   // 000000022EA8: 7F104188
	v_exp_f32_e32 v137, v137                                   // 000000022EAC: 7F124189
	v_exp_f32_e32 v138, v138                                   // 000000022EB0: 7F14418A
	v_exp_f32_e32 v139, v139                                   // 000000022EB4: 7F16418B
	v_exp_f32_e32 v140, v140                                   // 000000022EB8: 7F18418C
	v_exp_f32_e32 v141, v141                                   // 000000022EBC: 7F1A418D
	v_exp_f32_e32 v142, v142                                   // 000000022EC0: 7F1C418E
	v_exp_f32_e32 v143, v143                                   // 000000022EC4: 7F1E418F
	v_mul_f32_dpp v240, v252, v128 quad_perm:[0,0,0,0] row_mask:0xf bank_mask:0xf// 000000022EC8: 0BE100FA FF0000FC
	v_mul_f32_dpp v241, v252, v129 quad_perm:[1,1,1,1] row_mask:0xf bank_mask:0xf// 000000022ED0: 0BE302FA FF0055FC
	v_mul_f32_dpp v242, v252, v130 quad_perm:[2,2,2,2] row_mask:0xf bank_mask:0xf// 000000022ED8: 0BE504FA FF00AAFC
	v_mul_f32_dpp v243, v252, v131 quad_perm:[3,3,3,3] row_mask:0xf bank_mask:0xf// 000000022EE0: 0BE706FA FF00FFFC
	v_mul_f32_dpp v244, v253, v132 quad_perm:[0,0,0,0] row_mask:0xf bank_mask:0xf// 000000022EE8: 0BE908FA FF0000FD
	v_mul_f32_dpp v245, v253, v133 quad_perm:[1,1,1,1] row_mask:0xf bank_mask:0xf// 000000022EF0: 0BEB0AFA FF0055FD
	v_mul_f32_dpp v246, v253, v134 quad_perm:[2,2,2,2] row_mask:0xf bank_mask:0xf// 000000022EF8: 0BED0CFA FF00AAFD
	v_mul_f32_dpp v247, v253, v135 quad_perm:[3,3,3,3] row_mask:0xf bank_mask:0xf// 000000022F00: 0BEF0EFA FF00FFFD
	v_mul_f32_dpp v248, v254, v136 quad_perm:[0,0,0,0] row_mask:0xf bank_mask:0xf// 000000022F08: 0BF110FA FF0000FE
	v_mul_f32_dpp v249, v254, v137 quad_perm:[1,1,1,1] row_mask:0xf bank_mask:0xf// 000000022F10: 0BF312FA FF0055FE
	v_mul_f32_dpp v250, v254, v138 quad_perm:[2,2,2,2] row_mask:0xf bank_mask:0xf// 000000022F18: 0BF514FA FF00AAFE
	v_mul_f32_dpp v251, v254, v139 quad_perm:[3,3,3,3] row_mask:0xf bank_mask:0xf// 000000022F20: 0BF716FA FF00FFFE
	v_mul_f32_dpp v252, v255, v140 quad_perm:[0,0,0,0] row_mask:0xf bank_mask:0xf// 000000022F28: 0BF918FA FF0000FF
	v_mul_f32_dpp v253, v255, v141 quad_perm:[1,1,1,1] row_mask:0xf bank_mask:0xf// 000000022F30: 0BFB1AFA FF0055FF
	v_mul_f32_dpp v254, v255, v142 quad_perm:[2,2,2,2] row_mask:0xf bank_mask:0xf// 000000022F38: 0BFD1CFA FF00AAFF
	v_mul_f32_dpp v255, v255, v143 quad_perm:[3,3,3,3] row_mask:0xf bank_mask:0xf// 000000022F40: 0BFF1EFA FF00FFFF
	v_mov_b32_e32 v48, 0x358637bd                              // 000000022F48: 7E6002FF 358637BD
	v_max3_f32 v48, |v240|, |v241|, v48                        // 000000022F50: D1D30330 04C3E3F0
	v_max3_f32 v48, |v242|, |v243|, v48                        // 000000022F58: D1D30330 04C3E7F2
	v_max3_f32 v48, |v244|, |v245|, v48                        // 000000022F60: D1D30330 04C3EBF4
	v_max3_f32 v48, |v246|, |v247|, v48                        // 000000022F68: D1D30330 04C3EFF6
	v_max3_f32 v48, |v248|, |v249|, v48                        // 000000022F70: D1D30330 04C3F3F8
	v_max3_f32 v48, |v250|, |v251|, v48                        // 000000022F78: D1D30330 04C3F7FA
	v_max3_f32 v48, |v252|, |v253|, v48                        // 000000022F80: D1D30330 04C3FBFC
	v_max3_f32 v48, |v254|, |v255|, v48                        // 000000022F88: D1D30330 04C3FFFE
	ds_write_b32 v8, v48 offset:20992                          // 000000022F90: D81A5200 00003008
	v_sub_f32_e32 v50, v12, v15                                // 000000022F98: 04641F0C
	v_cndmask_b32_e64 v50, v50, 0, s[40:41]                    // 000000022F9C: D1000032 00A10132
	v_mov_b32_e32 v12, v15                                     // 000000022FA4: 7E18030F
	v_mul_f32_e32 v50, s64, v50                                // 000000022FA8: 0A646440
	v_exp_f32_e32 v50, v50                                     // 000000022FAC: 7E644132
	s_waitcnt lgkmcnt(0)                                       // 000000022FB0: BF8CC07F
	s_barrier                                                  // 000000022FB4: BF8A0000
	ds_read_b32 v64, v7 offset:20992                           // 000000022FB8: D86C5200 40000007
	ds_read_b32 v65, v7 offset:21056                           // 000000022FC0: D86C5240 41000007
	ds_read_b32 v66, v7 offset:21120                           // 000000022FC8: D86C5280 42000007
	ds_read_b32 v67, v7 offset:21184                           // 000000022FD0: D86C52C0 43000007
	ds_read_b32 v68, v7 offset:21248                           // 000000022FD8: D86C5300 44000007
	ds_read_b32 v69, v7 offset:21312                           // 000000022FE0: D86C5340 45000007
	ds_read_b32 v70, v7 offset:21376                           // 000000022FE8: D86C5380 46000007
	ds_read_b32 v71, v7 offset:21440                           // 000000022FF0: D86C53C0 47000007
	ds_read_b32 v72, v7 offset:21504                           // 000000022FF8: D86C5400 48000007
	ds_read_b32 v73, v7 offset:21568                           // 000000023000: D86C5440 49000007
	ds_read_b32 v74, v7 offset:21632                           // 000000023008: D86C5480 4A000007
	ds_read_b32 v75, v7 offset:21696                           // 000000023010: D86C54C0 4B000007
	ds_read_b32 v76, v7 offset:21760                           // 000000023018: D86C5500 4C000007
	ds_read_b32 v77, v7 offset:21824                           // 000000023020: D86C5540 4D000007
	ds_read_b32 v78, v7 offset:21888                           // 000000023028: D86C5580 4E000007
	ds_read_b32 v79, v7 offset:21952                           // 000000023030: D86C55C0 4F000007
	v_mul_f32_e32 v39, v50, v39                                // 000000023038: 0A4E4F32
	v_mov_b32_e32 v15, v128                                    // 00000002303C: 7E1E0380
	v_add_f32_e32 v15, v129, v15                               // 000000023040: 021E1F81
	v_add_f32_e32 v15, v130, v15                               // 000000023044: 021E1F82
	v_add_f32_e32 v15, v131, v15                               // 000000023048: 021E1F83
	v_add_f32_e32 v15, v132, v15                               // 00000002304C: 021E1F84
	v_add_f32_e32 v15, v133, v15                               // 000000023050: 021E1F85
	v_add_f32_e32 v15, v134, v15                               // 000000023054: 021E1F86
	v_add_f32_e32 v15, v135, v15                               // 000000023058: 021E1F87
	v_add_f32_e32 v15, v136, v15                               // 00000002305C: 021E1F88
	v_add_f32_e32 v15, v137, v15                               // 000000023060: 021E1F89
	v_add_f32_e32 v15, v138, v15                               // 000000023064: 021E1F8A
	v_add_f32_e32 v15, v139, v15                               // 000000023068: 021E1F8B
	v_add_f32_e32 v15, v140, v15                               // 00000002306C: 021E1F8C
	v_add_f32_e32 v15, v141, v15                               // 000000023070: 021E1F8D
	v_add_f32_e32 v15, v142, v15                               // 000000023074: 021E1F8E
	v_add_f32_e32 v15, v143, v15                               // 000000023078: 021E1F8F
	v_add_f32_e32 v39, v15, v39                                // 00000002307C: 024E4F0F
	s_waitcnt lgkmcnt(0)                                       // 000000023080: BF8CC07F
	v_max3_f32 v48, |v64|, |v65|, v48                          // 000000023084: D1D30330 04C28340
	v_max3_f32 v48, |v66|, |v67|, v48                          // 00000002308C: D1D30330 04C28742
	v_max3_f32 v48, |v68|, |v69|, v48                          // 000000023094: D1D30330 04C28B44
	v_max3_f32 v48, |v70|, |v71|, v48                          // 00000002309C: D1D30330 04C28F46
	v_max3_f32 v48, |v72|, |v73|, v48                          // 0000000230A4: D1D30330 04C29348
	v_max3_f32 v48, |v74|, |v75|, v48                          // 0000000230AC: D1D30330 04C2974A
	v_max3_f32 v48, |v76|, |v77|, v48                          // 0000000230B4: D1D30330 04C29B4C
	v_max3_f32 v48, |v78|, |v79|, v48                          // 0000000230BC: D1D30330 04C29F4E
	s_nop 2                                                    // 0000000230C4: BF800002
	v_rcp_f32_e32 v48, v48                                     // 0000000230C8: 7E604530
	s_nop 1                                                    // 0000000230CC: BF800001
	v_mul_f32_e32 v48, 0x43e00000, v48                         // 0000000230D0: 0A6060FF 43E00000
	v_mul_f32_e32 v128, v48, v240                              // 0000000230D8: 0B01E130
	v_mul_f32_e32 v129, v48, v241                              // 0000000230DC: 0B03E330
	v_mul_f32_e32 v130, v48, v242                              // 0000000230E0: 0B05E530
	v_mul_f32_e32 v131, v48, v243                              // 0000000230E4: 0B07E730
	v_mul_f32_e32 v132, v48, v244                              // 0000000230E8: 0B09E930
	v_mul_f32_e32 v133, v48, v245                              // 0000000230EC: 0B0BEB30
	v_mul_f32_e32 v134, v48, v246                              // 0000000230F0: 0B0DED30
	v_mul_f32_e32 v135, v48, v247                              // 0000000230F4: 0B0FEF30
	v_mul_f32_e32 v136, v48, v248                              // 0000000230F8: 0B11F130
	v_mul_f32_e32 v137, v48, v249                              // 0000000230FC: 0B13F330
	v_mul_f32_e32 v138, v48, v250                              // 000000023100: 0B15F530
	v_mul_f32_e32 v139, v48, v251                              // 000000023104: 0B17F730
	v_mul_f32_e32 v140, v48, v252                              // 000000023108: 0B19F930
	v_mul_f32_e32 v141, v48, v253                              // 00000002310C: 0B1BFB30
	v_mul_f32_e32 v142, v48, v254                              // 000000023110: 0B1DFD30
	v_mul_f32_e32 v143, v48, v255                              // 000000023114: 0B1FFF30
	v_cvt_pk_fp8_f32 v128, v128, v129                          // 000000023118: D2A20080 00030380
	v_cvt_pk_fp8_f32 v128, v130, v131 op_sel:[0,0,1]           // 000000023120: D2A24080 00030782
	v_cvt_pk_fp8_f32 v129, v132, v133                          // 000000023128: D2A20081 00030B84
	v_cvt_pk_fp8_f32 v129, v134, v135 op_sel:[0,0,1]           // 000000023130: D2A24081 00030F86
	v_cvt_pk_fp8_f32 v130, v136, v137                          // 000000023138: D2A20082 00031388
	v_cvt_pk_fp8_f32 v130, v138, v139 op_sel:[0,0,1]           // 000000023140: D2A24082 0003178A
	v_cvt_pk_fp8_f32 v131, v140, v141                          // 000000023148: D2A20083 00031B8C
	v_cvt_pk_fp8_f32 v131, v142, v143 op_sel:[0,0,1]           // 000000023150: D2A24083 00031F8E
	ds_write_b32 v10, v128 offset:29184                        // 000000023158: D81A7200 0000800A
	ds_write_b32 v10, v129 offset:30208                        // 000000023160: D81A7600 0000810A
	ds_write_b32 v10, v130 offset:31232                        // 000000023168: D81A7A00 0000820A
	ds_write_b32 v10, v131 offset:32256                        // 000000023170: D81A7E00 0000830A
	v_add_f32_e32 v216, v216, v184                             // 000000023178: 03B171D8
	v_add_f32_e32 v217, v217, v185                             // 00000002317C: 03B373D9
	v_add_f32_e32 v218, v218, v186                             // 000000023180: 03B575DA
	v_add_f32_e32 v219, v219, v187                             // 000000023184: 03B777DB
	v_add_f32_e32 v220, v220, v188                             // 000000023188: 03B979DC
	v_add_f32_e32 v221, v221, v189                             // 00000002318C: 03BB7BDD
	v_add_f32_e32 v222, v222, v190                             // 000000023190: 03BD7DDE
	v_add_f32_e32 v223, v223, v191                             // 000000023194: 03BF7FDF
	v_rcp_f32_e32 v45, v48                                     // 000000023198: 7E5A4530
	s_waitcnt lgkmcnt(0)                                       // 00000002319C: BF8CC07F
	s_barrier                                                  // 0000000231A0: BF8A0000
	ds_read_b64 v[128:129], v9 offset:29184                    // 0000000231A4: D8EC7200 80000009
	ds_read_b64 v[130:131], v9 offset:29312                    // 0000000231AC: D8EC7280 82000009
	ds_read_b64 v[132:133], v9 offset:30208                    // 0000000231B4: D8EC7600 84000009
	ds_read_b64 v[134:135], v9 offset:30336                    // 0000000231BC: D8EC7680 86000009
	ds_read_b64 v[136:137], v9 offset:31232                    // 0000000231C4: D8EC7A00 88000009
	ds_read_b64 v[138:139], v9 offset:31360                    // 0000000231CC: D8EC7A80 8A000009
	ds_read_b64 v[140:141], v9 offset:32256                    // 0000000231D4: D8EC7E00 8C000009
	ds_read_b64 v[142:143], v9 offset:32384                    // 0000000231DC: D8EC7E80 8E000009
	v_mov_b32_dpp v64, v42 row_shr:4 row_mask:0xf bank_mask:0xf// 0000000231E4: 7E8002FA FF01142A
	v_mov_b32_dpp v65, v42 row_shl:4 row_mask:0xf bank_mask:0xf// 0000000231EC: 7E8202FA FF01042A
	v_cndmask_b32_e64 v248, v42, v64, s[44:45]                 // 0000000231F4: D10000F8 00B2812A
	v_cndmask_b32_e64 v249, v65, v42, s[44:45]                 // 0000000231FC: D10000F9 00B25541
	v_mov_b32_dpp v64, v248 row_shr:8 row_mask:0xf bank_mask:0xf// 000000023204: 7E8002FA FF0118F8
	v_mov_b32_dpp v65, v248 row_shl:8 row_mask:0xf bank_mask:0xf// 00000002320C: 7E8202FA FF0108F8
	v_mov_b32_dpp v66, v249 row_shr:8 row_mask:0xf bank_mask:0xf// 000000023214: 7E8402FA FF0118F9
	v_mov_b32_dpp v67, v249 row_shl:8 row_mask:0xf bank_mask:0xf// 00000002321C: 7E8602FA FF0108F9
	v_mov_b32_e32 v68, v248                                    // 000000023224: 7E8803F8
	v_mov_b32_e32 v69, v249                                    // 000000023228: 7E8A03F9
	v_cndmask_b32_e64 v248, v68, v64, s[42:43]                 // 00000002322C: D10000F8 00AA8144
	v_cndmask_b32_e64 v250, v68, v65, s[78:79]                 // 000000023234: D10000FA 013A8344
	v_cndmask_b32_e64 v249, v69, v66, s[42:43]                 // 00000002323C: D10000F9 00AA8545
	v_cndmask_b32_e64 v251, v69, v67, s[78:79]                 // 000000023244: D10000FB 013A8745
	v_mov_b32_dpp v64, v57 row_shr:4 row_mask:0xf bank_mask:0xf// 00000002324C: 7E8002FA FF011439
	v_mov_b32_dpp v65, v57 row_shl:4 row_mask:0xf bank_mask:0xf// 000000023254: 7E8202FA FF010439
	v_cndmask_b32_e64 v252, v57, v64, s[44:45]                 // 00000002325C: D10000FC 00B28139
	v_cndmask_b32_e64 v253, v65, v57, s[44:45]                 // 000000023264: D10000FD 00B27341
	v_mov_b32_dpp v64, v252 row_shr:8 row_mask:0xf bank_mask:0xf// 00000002326C: 7E8002FA FF0118FC
	v_mov_b32_dpp v65, v252 row_shl:8 row_mask:0xf bank_mask:0xf// 000000023274: 7E8202FA FF0108FC
	v_mov_b32_dpp v66, v253 row_shr:8 row_mask:0xf bank_mask:0xf// 00000002327C: 7E8402FA FF0118FD
	v_mov_b32_dpp v67, v253 row_shl:8 row_mask:0xf bank_mask:0xf// 000000023284: 7E8602FA FF0108FD
	v_mov_b32_e32 v68, v252                                    // 00000002328C: 7E8803FC
	v_mov_b32_e32 v69, v253                                    // 000000023290: 7E8A03FD
	v_cndmask_b32_e64 v252, v68, v64, s[42:43]                 // 000000023294: D10000FC 00AA8144
	v_cndmask_b32_e64 v254, v68, v65, s[78:79]                 // 00000002329C: D10000FE 013A8344
	v_cndmask_b32_e64 v253, v69, v66, s[42:43]                 // 0000000232A4: D10000FD 00AA8545
	v_cndmask_b32_e64 v255, v69, v67, s[78:79]                 // 0000000232AC: D10000FF 013A8745
	v_mul_f32_e32 v144, v20, v144                              // 0000000232B4: 0B212114
	v_mul_f32_e32 v145, v20, v145                              // 0000000232B8: 0B232314
	v_mul_f32_e32 v146, v20, v146                              // 0000000232BC: 0B252514
	v_mul_f32_e32 v147, v20, v147                              // 0000000232C0: 0B272714
	v_mul_f32_e32 v148, v20, v148                              // 0000000232C4: 0B292914
	v_mul_f32_e32 v149, v20, v149                              // 0000000232C8: 0B2B2B14
	v_mul_f32_e32 v150, v20, v150                              // 0000000232CC: 0B2D2D14
	v_mul_f32_e32 v151, v20, v151                              // 0000000232D0: 0B2F2F14
	v_mul_f32_e32 v152, v20, v152                              // 0000000232D4: 0B313114
	v_mul_f32_e32 v153, v20, v153                              // 0000000232D8: 0B333314
	v_mul_f32_e32 v154, v20, v154                              // 0000000232DC: 0B353514
	v_mul_f32_e32 v155, v20, v155                              // 0000000232E0: 0B373714
	v_mul_f32_e32 v156, v20, v156                              // 0000000232E4: 0B393914
	v_mul_f32_e32 v157, v20, v157                              // 0000000232E8: 0B3B3B14
	v_mul_f32_e32 v158, v20, v158                              // 0000000232EC: 0B3D3D14
	v_mul_f32_e32 v159, v20, v159                              // 0000000232F0: 0B3F3F14
	v_mul_f32_dpp v144, v248, v144 quad_perm:[0,0,0,0] row_mask:0xf bank_mask:0xf// 0000000232F4: 0B2120FA FF0000F8
	v_mul_f32_dpp v145, v248, v145 quad_perm:[1,1,1,1] row_mask:0xf bank_mask:0xf// 0000000232FC: 0B2322FA FF0055F8
	v_mul_f32_dpp v146, v248, v146 quad_perm:[2,2,2,2] row_mask:0xf bank_mask:0xf// 000000023304: 0B2524FA FF00AAF8
	v_mul_f32_dpp v147, v248, v147 quad_perm:[3,3,3,3] row_mask:0xf bank_mask:0xf// 00000002330C: 0B2726FA FF00FFF8
	v_mul_f32_dpp v148, v249, v148 quad_perm:[0,0,0,0] row_mask:0xf bank_mask:0xf// 000000023314: 0B2928FA FF0000F9
	v_mul_f32_dpp v149, v249, v149 quad_perm:[1,1,1,1] row_mask:0xf bank_mask:0xf// 00000002331C: 0B2B2AFA FF0055F9
	v_mul_f32_dpp v150, v249, v150 quad_perm:[2,2,2,2] row_mask:0xf bank_mask:0xf// 000000023324: 0B2D2CFA FF00AAF9
	v_mul_f32_dpp v151, v249, v151 quad_perm:[3,3,3,3] row_mask:0xf bank_mask:0xf// 00000002332C: 0B2F2EFA FF00FFF9
	v_mul_f32_dpp v152, v250, v152 quad_perm:[0,0,0,0] row_mask:0xf bank_mask:0xf// 000000023334: 0B3130FA FF0000FA
	v_mul_f32_dpp v153, v250, v153 quad_perm:[1,1,1,1] row_mask:0xf bank_mask:0xf// 00000002333C: 0B3332FA FF0055FA
	v_mul_f32_dpp v154, v250, v154 quad_perm:[2,2,2,2] row_mask:0xf bank_mask:0xf// 000000023344: 0B3534FA FF00AAFA
	v_mul_f32_dpp v155, v250, v155 quad_perm:[3,3,3,3] row_mask:0xf bank_mask:0xf// 00000002334C: 0B3736FA FF00FFFA
	v_mul_f32_dpp v156, v251, v156 quad_perm:[0,0,0,0] row_mask:0xf bank_mask:0xf// 000000023354: 0B3938FA FF0000FB
	v_mul_f32_dpp v157, v251, v157 quad_perm:[1,1,1,1] row_mask:0xf bank_mask:0xf// 00000002335C: 0B3B3AFA FF0055FB
	v_mul_f32_dpp v158, v251, v158 quad_perm:[2,2,2,2] row_mask:0xf bank_mask:0xf// 000000023364: 0B3D3CFA FF00AAFB
	v_mul_f32_dpp v159, v251, v159 quad_perm:[3,3,3,3] row_mask:0xf bank_mask:0xf// 00000002336C: 0B3F3EFA FF00FFFB
	s_and_b32 s60, s72, 0xff                                   // 000000023374: 863CFF48 000000FF
	v_mov_b32_e32 v65, s60                                     // 00000002337C: 7E82023C
	v_lshrrev_b32_e32 v240, 4, v0                              // 000000023380: 21E00084
	v_mul_i32_i24_e32 v240, 4, v240                            // 000000023384: 0DE1E084
	s_mul_i32 s60, s7, 16                                      // 000000023388: 923C9007
	v_add_u32_e32 v240, s60, v240                              // 00000002338C: 69E1E03C
	v_add_u32_e32 v241, 1, v240                                // 000000023390: 69E3E081
	v_add_u32_e32 v242, 2, v240                                // 000000023394: 69E5E082
	v_add_u32_e32 v243, 3, v240                                // 000000023398: 69E7E083
	v_mov_b32_e32 v64, 0xff800000                              // 00000002339C: 7E8002FF FF800000
	v_cmp_lt_u32_e64 s[40:41], v240, v65                       // 0000000233A4: D0C90028 000283F0
	v_add_u32_e32 v240, 64, v240                               // 0000000233AC: 69E1E0C0
	s_nop 0                                                    // 0000000233B0: BF800000
	v_cndmask_b32_e64 v144, v64, v144, s[40:41]                // 0000000233B4: D1000090 00A32140
	v_cmp_lt_u32_e64 s[40:41], v241, v65                       // 0000000233BC: D0C90028 000283F1
	v_add_u32_e32 v241, 64, v241                               // 0000000233C4: 69E3E2C0
	s_nop 0                                                    // 0000000233C8: BF800000
	v_cndmask_b32_e64 v145, v64, v145, s[40:41]                // 0000000233CC: D1000091 00A32340
	v_cmp_lt_u32_e64 s[40:41], v242, v65                       // 0000000233D4: D0C90028 000283F2
	v_add_u32_e32 v242, 64, v242                               // 0000000233DC: 69E5E4C0
	s_nop 0                                                    // 0000000233E0: BF800000
	v_cndmask_b32_e64 v146, v64, v146, s[40:41]                // 0000000233E4: D1000092 00A32540
	v_cmp_lt_u32_e64 s[40:41], v243, v65                       // 0000000233EC: D0C90028 000283F3
	v_add_u32_e32 v243, 64, v243                               // 0000000233F4: 69E7E6C0
	s_nop 0                                                    // 0000000233F8: BF800000
	v_cndmask_b32_e64 v147, v64, v147, s[40:41]                // 0000000233FC: D1000093 00A32740
	v_cmp_lt_u32_e64 s[40:41], v240, v65                       // 000000023404: D0C90028 000283F0
	v_add_u32_e32 v240, 64, v240                               // 00000002340C: 69E1E0C0
	s_nop 0                                                    // 000000023410: BF800000
	v_cndmask_b32_e64 v148, v64, v148, s[40:41]                // 000000023414: D1000094 00A32940
	v_cmp_lt_u32_e64 s[40:41], v241, v65                       // 00000002341C: D0C90028 000283F1
	v_add_u32_e32 v241, 64, v241                               // 000000023424: 69E3E2C0
	s_nop 0                                                    // 000000023428: BF800000
	v_cndmask_b32_e64 v149, v64, v149, s[40:41]                // 00000002342C: D1000095 00A32B40
	v_cmp_lt_u32_e64 s[40:41], v242, v65                       // 000000023434: D0C90028 000283F2
	v_add_u32_e32 v242, 64, v242                               // 00000002343C: 69E5E4C0
	s_nop 0                                                    // 000000023440: BF800000
	v_cndmask_b32_e64 v150, v64, v150, s[40:41]                // 000000023444: D1000096 00A32D40
	v_cmp_lt_u32_e64 s[40:41], v243, v65                       // 00000002344C: D0C90028 000283F3
	v_add_u32_e32 v243, 64, v243                               // 000000023454: 69E7E6C0
	s_nop 0                                                    // 000000023458: BF800000
	v_cndmask_b32_e64 v151, v64, v151, s[40:41]                // 00000002345C: D1000097 00A32F40
	v_cmp_lt_u32_e64 s[40:41], v240, v65                       // 000000023464: D0C90028 000283F0
	v_add_u32_e32 v240, 64, v240                               // 00000002346C: 69E1E0C0
	s_nop 0                                                    // 000000023470: BF800000
	v_cndmask_b32_e64 v152, v64, v152, s[40:41]                // 000000023474: D1000098 00A33140
	v_cmp_lt_u32_e64 s[40:41], v241, v65                       // 00000002347C: D0C90028 000283F1
	v_add_u32_e32 v241, 64, v241                               // 000000023484: 69E3E2C0
	s_nop 0                                                    // 000000023488: BF800000
	v_cndmask_b32_e64 v153, v64, v153, s[40:41]                // 00000002348C: D1000099 00A33340
	v_cmp_lt_u32_e64 s[40:41], v242, v65                       // 000000023494: D0C90028 000283F2
	v_add_u32_e32 v242, 64, v242                               // 00000002349C: 69E5E4C0
	s_nop 0                                                    // 0000000234A0: BF800000
	v_cndmask_b32_e64 v154, v64, v154, s[40:41]                // 0000000234A4: D100009A 00A33540
	v_cmp_lt_u32_e64 s[40:41], v243, v65                       // 0000000234AC: D0C90028 000283F3
	v_add_u32_e32 v243, 64, v243                               // 0000000234B4: 69E7E6C0
	s_nop 0                                                    // 0000000234B8: BF800000
	v_cndmask_b32_e64 v155, v64, v155, s[40:41]                // 0000000234BC: D100009B 00A33740
	v_cmp_lt_u32_e64 s[40:41], v240, v65                       // 0000000234C4: D0C90028 000283F0
	v_add_u32_e32 v240, 64, v240                               // 0000000234CC: 69E1E0C0
	s_nop 0                                                    // 0000000234D0: BF800000
	v_cndmask_b32_e64 v156, v64, v156, s[40:41]                // 0000000234D4: D100009C 00A33940
	v_cmp_lt_u32_e64 s[40:41], v241, v65                       // 0000000234DC: D0C90028 000283F1
	v_add_u32_e32 v241, 64, v241                               // 0000000234E4: 69E3E2C0
	s_nop 0                                                    // 0000000234E8: BF800000
	v_cndmask_b32_e64 v157, v64, v157, s[40:41]                // 0000000234EC: D100009D 00A33B40
	v_cmp_lt_u32_e64 s[40:41], v242, v65                       // 0000000234F4: D0C90028 000283F2
	v_add_u32_e32 v242, 64, v242                               // 0000000234FC: 69E5E4C0
	s_nop 0                                                    // 000000023500: BF800000
	v_cndmask_b32_e64 v158, v64, v158, s[40:41]                // 000000023504: D100009E 00A33D40
	v_cmp_lt_u32_e64 s[40:41], v243, v65                       // 00000002350C: D0C90028 000283F3
	v_add_u32_e32 v243, 64, v243                               // 000000023514: 69E7E6C0
	s_nop 0                                                    // 000000023518: BF800000
	v_cndmask_b32_e64 v159, v64, v159, s[40:41]                // 00000002351C: D100009F 00A33F40
	v_mov_b32_e32 v48, v144                                    // 000000023524: 7E600390
	v_max3_f32 v48, v144, v145, v48                            // 000000023528: D1D30030 04C32390
	v_max3_f32 v48, v146, v147, v48                            // 000000023530: D1D30030 04C32792
	v_max3_f32 v48, v148, v149, v48                            // 000000023538: D1D30030 04C32B94
	v_max3_f32 v48, v150, v151, v48                            // 000000023540: D1D30030 04C32F96
	v_max3_f32 v48, v152, v153, v48                            // 000000023548: D1D30030 04C33398
	v_max3_f32 v48, v154, v155, v48                            // 000000023550: D1D30030 04C3379A
	v_max3_f32 v48, v156, v157, v48                            // 000000023558: D1D30030 04C33B9C
	v_max3_f32 v48, v158, v159, v48                            // 000000023560: D1D30030 04C33F9E
	ds_write_b32 v8, v48 offset:16896                          // 000000023568: D81A4200 00003008
	v_mul_f32_e32 v224, v51, v224                              // 000000023570: 0BC1C133
	v_mul_f32_e32 v225, v51, v225                              // 000000023574: 0BC3C333
	v_mul_f32_e32 v226, v51, v226                              // 000000023578: 0BC5C533
	v_mul_f32_e32 v227, v51, v227                              // 00000002357C: 0BC7C733
	v_mul_f32_e32 v228, v51, v228                              // 000000023580: 0BC9C933
	v_mul_f32_e32 v229, v51, v229                              // 000000023584: 0BCBCB33
	v_mul_f32_e32 v230, v51, v230                              // 000000023588: 0BCDCD33
	v_mul_f32_e32 v231, v51, v231                              // 00000002358C: 0BCFCF33
	s_waitcnt lgkmcnt(0)                                       // 000000023590: BF8CC07F
	s_barrier                                                  // 000000023594: BF8A0000
	ds_read_b32 v64, v7 offset:16896                           // 000000023598: D86C4200 40000007
	ds_read_b32 v65, v7 offset:16960                           // 0000000235A0: D86C4240 41000007
	ds_read_b32 v66, v7 offset:17024                           // 0000000235A8: D86C4280 42000007
	ds_read_b32 v67, v7 offset:17088                           // 0000000235B0: D86C42C0 43000007
	ds_read_b32 v68, v7 offset:17152                           // 0000000235B8: D86C4300 44000007
	ds_read_b32 v69, v7 offset:17216                           // 0000000235C0: D86C4340 45000007
	ds_read_b32 v70, v7 offset:17280                           // 0000000235C8: D86C4380 46000007
	ds_read_b32 v71, v7 offset:17344                           // 0000000235D0: D86C43C0 47000007
	ds_read_b32 v72, v7 offset:17408                           // 0000000235D8: D86C4400 48000007
	ds_read_b32 v73, v7 offset:17472                           // 0000000235E0: D86C4440 49000007
	ds_read_b32 v74, v7 offset:17536                           // 0000000235E8: D86C4480 4A000007
	ds_read_b32 v75, v7 offset:17600                           // 0000000235F0: D86C44C0 4B000007
	ds_read_b32 v76, v7 offset:17664                           // 0000000235F8: D86C4500 4C000007
	ds_read_b32 v77, v7 offset:17728                           // 000000023600: D86C4540 4D000007
	ds_read_b32 v78, v7 offset:17792                           // 000000023608: D86C4580 4E000007
	ds_read_b32 v79, v7 offset:17856                           // 000000023610: D86C45C0 4F000007
	v_mul_f32_e32 v192, v46, v192                              // 000000023618: 0B81812E
	v_mul_f32_e32 v193, v46, v193                              // 00000002361C: 0B83832E
	v_mul_f32_e32 v194, v46, v194                              // 000000023620: 0B85852E
	v_mul_f32_e32 v195, v46, v195                              // 000000023624: 0B87872E
	v_mul_f32_e32 v196, v46, v196                              // 000000023628: 0B89892E
	v_mul_f32_e32 v197, v46, v197                              // 00000002362C: 0B8B8B2E
	v_mul_f32_e32 v198, v46, v198                              // 000000023630: 0B8D8D2E
	v_mul_f32_e32 v199, v46, v199                              // 000000023634: 0B8F8F2E
	s_waitcnt lgkmcnt(0)                                       // 000000023638: BF8CC07F
	v_max3_f32 v48, v64, v65, v48                              // 00000002363C: D1D30030 04C28340
	v_max3_f32 v48, v66, v67, v48                              // 000000023644: D1D30030 04C28742
	v_max3_f32 v48, v68, v69, v48                              // 00000002364C: D1D30030 04C28B44
	v_max3_f32 v48, v70, v71, v48                              // 000000023654: D1D30030 04C28F46
	v_max3_f32 v48, v72, v73, v48                              // 00000002365C: D1D30030 04C29348
	v_max3_f32 v48, v74, v75, v48                              // 000000023664: D1D30030 04C2974A
	v_max3_f32 v48, v76, v77, v48                              // 00000002366C: D1D30030 04C29B4C
	v_max3_f32 v48, v78, v79, v48                              // 000000023674: D1D30030 04C29F4E
	v_mov_b32_e32 v64, 0xff800000                              // 00000002367C: 7E8002FF FF800000
	v_cmp_eq_u32_e64 s[40:41], v64, v13                        // 000000023684: D0CA0028 00021B40
	s_nop 1                                                    // 00000002368C: BF800001
	v_max_f32_e32 v15, v48, v13                                // 000000023690: 161E1B30
	v_mul_f32_e32 v53, s64, v15                                // 000000023694: 0A6A1E40
	v_fma_f32 v144, v144, s64, -v53                            // 000000023698: D1CB0090 84D48190
	v_fma_f32 v145, v145, s64, -v53                            // 0000000236A0: D1CB0091 84D48191
	v_fma_f32 v146, v146, s64, -v53                            // 0000000236A8: D1CB0092 84D48192
	v_fma_f32 v147, v147, s64, -v53                            // 0000000236B0: D1CB0093 84D48193
	v_fma_f32 v148, v148, s64, -v53                            // 0000000236B8: D1CB0094 84D48194
	v_fma_f32 v149, v149, s64, -v53                            // 0000000236C0: D1CB0095 84D48195
	v_fma_f32 v150, v150, s64, -v53                            // 0000000236C8: D1CB0096 84D48196
	v_fma_f32 v151, v151, s64, -v53                            // 0000000236D0: D1CB0097 84D48197
	v_fma_f32 v152, v152, s64, -v53                            // 0000000236D8: D1CB0098 84D48198
	v_fma_f32 v153, v153, s64, -v53                            // 0000000236E0: D1CB0099 84D48199
	v_fma_f32 v154, v154, s64, -v53                            // 0000000236E8: D1CB009A 84D4819A
	v_fma_f32 v155, v155, s64, -v53                            // 0000000236F0: D1CB009B 84D4819B
	v_fma_f32 v156, v156, s64, -v53                            // 0000000236F8: D1CB009C 84D4819C
	v_fma_f32 v157, v157, s64, -v53                            // 000000023700: D1CB009D 84D4819D
	v_fma_f32 v158, v158, s64, -v53                            // 000000023708: D1CB009E 84D4819E
	v_fma_f32 v159, v159, s64, -v53                            // 000000023710: D1CB009F 84D4819F
	v_exp_f32_e32 v144, v144                                   // 000000023718: 7F204190
	v_exp_f32_e32 v145, v145                                   // 00000002371C: 7F224191
	v_exp_f32_e32 v146, v146                                   // 000000023720: 7F244192
	v_exp_f32_e32 v147, v147                                   // 000000023724: 7F264193
	v_exp_f32_e32 v148, v148                                   // 000000023728: 7F284194
	v_exp_f32_e32 v149, v149                                   // 00000002372C: 7F2A4195
	v_exp_f32_e32 v150, v150                                   // 000000023730: 7F2C4196
	v_exp_f32_e32 v151, v151                                   // 000000023734: 7F2E4197
	v_exp_f32_e32 v152, v152                                   // 000000023738: 7F304198
	v_exp_f32_e32 v153, v153                                   // 00000002373C: 7F324199
	v_exp_f32_e32 v154, v154                                   // 000000023740: 7F34419A
	v_exp_f32_e32 v155, v155                                   // 000000023744: 7F36419B
	v_exp_f32_e32 v156, v156                                   // 000000023748: 7F38419C
	v_exp_f32_e32 v157, v157                                   // 00000002374C: 7F3A419D
	v_exp_f32_e32 v158, v158                                   // 000000023750: 7F3C419E
	v_exp_f32_e32 v159, v159                                   // 000000023754: 7F3E419F
	v_mul_f32_dpp v240, v252, v144 quad_perm:[0,0,0,0] row_mask:0xf bank_mask:0xf// 000000023758: 0BE120FA FF0000FC
	v_mul_f32_dpp v241, v252, v145 quad_perm:[1,1,1,1] row_mask:0xf bank_mask:0xf// 000000023760: 0BE322FA FF0055FC
	v_mul_f32_dpp v242, v252, v146 quad_perm:[2,2,2,2] row_mask:0xf bank_mask:0xf// 000000023768: 0BE524FA FF00AAFC
	v_mul_f32_dpp v243, v252, v147 quad_perm:[3,3,3,3] row_mask:0xf bank_mask:0xf// 000000023770: 0BE726FA FF00FFFC
	v_mul_f32_dpp v244, v253, v148 quad_perm:[0,0,0,0] row_mask:0xf bank_mask:0xf// 000000023778: 0BE928FA FF0000FD
	v_mul_f32_dpp v245, v253, v149 quad_perm:[1,1,1,1] row_mask:0xf bank_mask:0xf// 000000023780: 0BEB2AFA FF0055FD
	v_mul_f32_dpp v246, v253, v150 quad_perm:[2,2,2,2] row_mask:0xf bank_mask:0xf// 000000023788: 0BED2CFA FF00AAFD
	v_mul_f32_dpp v247, v253, v151 quad_perm:[3,3,3,3] row_mask:0xf bank_mask:0xf// 000000023790: 0BEF2EFA FF00FFFD
	v_mul_f32_dpp v248, v254, v152 quad_perm:[0,0,0,0] row_mask:0xf bank_mask:0xf// 000000023798: 0BF130FA FF0000FE
	v_mul_f32_dpp v249, v254, v153 quad_perm:[1,1,1,1] row_mask:0xf bank_mask:0xf// 0000000237A0: 0BF332FA FF0055FE
	v_mul_f32_dpp v250, v254, v154 quad_perm:[2,2,2,2] row_mask:0xf bank_mask:0xf// 0000000237A8: 0BF534FA FF00AAFE
	v_mul_f32_dpp v251, v254, v155 quad_perm:[3,3,3,3] row_mask:0xf bank_mask:0xf// 0000000237B0: 0BF736FA FF00FFFE
	v_mul_f32_dpp v252, v255, v156 quad_perm:[0,0,0,0] row_mask:0xf bank_mask:0xf// 0000000237B8: 0BF938FA FF0000FF
	v_mul_f32_dpp v253, v255, v157 quad_perm:[1,1,1,1] row_mask:0xf bank_mask:0xf// 0000000237C0: 0BFB3AFA FF0055FF
	v_mul_f32_dpp v254, v255, v158 quad_perm:[2,2,2,2] row_mask:0xf bank_mask:0xf// 0000000237C8: 0BFD3CFA FF00AAFF
	v_mul_f32_dpp v255, v255, v159 quad_perm:[3,3,3,3] row_mask:0xf bank_mask:0xf// 0000000237D0: 0BFF3EFA FF00FFFF
	v_mov_b32_e32 v48, 0x358637bd                              // 0000000237D8: 7E6002FF 358637BD
	v_max3_f32 v48, |v240|, |v241|, v48                        // 0000000237E0: D1D30330 04C3E3F0
	v_max3_f32 v48, |v242|, |v243|, v48                        // 0000000237E8: D1D30330 04C3E7F2
	v_max3_f32 v48, |v244|, |v245|, v48                        // 0000000237F0: D1D30330 04C3EBF4
	v_max3_f32 v48, |v246|, |v247|, v48                        // 0000000237F8: D1D30330 04C3EFF6
	v_max3_f32 v48, |v248|, |v249|, v48                        // 000000023800: D1D30330 04C3F3F8
	v_max3_f32 v48, |v250|, |v251|, v48                        // 000000023808: D1D30330 04C3F7FA
	v_max3_f32 v48, |v252|, |v253|, v48                        // 000000023810: D1D30330 04C3FBFC
	v_max3_f32 v48, |v254|, |v255|, v48                        // 000000023818: D1D30330 04C3FFFE
	ds_write_b32 v8, v48 offset:20992                          // 000000023820: D81A5200 00003008
	v_sub_f32_e32 v51, v13, v15                                // 000000023828: 04661F0D
	v_cndmask_b32_e64 v51, v51, 0, s[40:41]                    // 00000002382C: D1000033 00A10133
	v_mov_b32_e32 v13, v15                                     // 000000023834: 7E1A030F
	v_mul_f32_e32 v51, s64, v51                                // 000000023838: 0A666640
	v_exp_f32_e32 v51, v51                                     // 00000002383C: 7E664133
	s_waitcnt lgkmcnt(0)                                       // 000000023840: BF8CC07F
	s_barrier                                                  // 000000023844: BF8A0000
	ds_read_b32 v64, v7 offset:20992                           // 000000023848: D86C5200 40000007
	ds_read_b32 v65, v7 offset:21056                           // 000000023850: D86C5240 41000007
	ds_read_b32 v66, v7 offset:21120                           // 000000023858: D86C5280 42000007
	ds_read_b32 v67, v7 offset:21184                           // 000000023860: D86C52C0 43000007
	ds_read_b32 v68, v7 offset:21248                           // 000000023868: D86C5300 44000007
	ds_read_b32 v69, v7 offset:21312                           // 000000023870: D86C5340 45000007
	ds_read_b32 v70, v7 offset:21376                           // 000000023878: D86C5380 46000007
	ds_read_b32 v71, v7 offset:21440                           // 000000023880: D86C53C0 47000007
	ds_read_b32 v72, v7 offset:21504                           // 000000023888: D86C5400 48000007
	ds_read_b32 v73, v7 offset:21568                           // 000000023890: D86C5440 49000007
	ds_read_b32 v74, v7 offset:21632                           // 000000023898: D86C5480 4A000007
	ds_read_b32 v75, v7 offset:21696                           // 0000000238A0: D86C54C0 4B000007
	ds_read_b32 v76, v7 offset:21760                           // 0000000238A8: D86C5500 4C000007
	ds_read_b32 v77, v7 offset:21824                           // 0000000238B0: D86C5540 4D000007
	ds_read_b32 v78, v7 offset:21888                           // 0000000238B8: D86C5580 4E000007
	ds_read_b32 v79, v7 offset:21952                           // 0000000238C0: D86C55C0 4F000007
	v_mul_f32_e32 v40, v51, v40                                // 0000000238C8: 0A505133
	v_mov_b32_e32 v15, v144                                    // 0000000238CC: 7E1E0390
	v_add_f32_e32 v15, v145, v15                               // 0000000238D0: 021E1F91
	v_add_f32_e32 v15, v146, v15                               // 0000000238D4: 021E1F92
	v_add_f32_e32 v15, v147, v15                               // 0000000238D8: 021E1F93
	v_add_f32_e32 v15, v148, v15                               // 0000000238DC: 021E1F94
	v_add_f32_e32 v15, v149, v15                               // 0000000238E0: 021E1F95
	v_add_f32_e32 v15, v150, v15                               // 0000000238E4: 021E1F96
	v_add_f32_e32 v15, v151, v15                               // 0000000238E8: 021E1F97
	v_add_f32_e32 v15, v152, v15                               // 0000000238EC: 021E1F98
	v_add_f32_e32 v15, v153, v15                               // 0000000238F0: 021E1F99
	v_add_f32_e32 v15, v154, v15                               // 0000000238F4: 021E1F9A
	v_add_f32_e32 v15, v155, v15                               // 0000000238F8: 021E1F9B
	v_add_f32_e32 v15, v156, v15                               // 0000000238FC: 021E1F9C
	v_add_f32_e32 v15, v157, v15                               // 000000023900: 021E1F9D
	v_add_f32_e32 v15, v158, v15                               // 000000023904: 021E1F9E
	v_add_f32_e32 v15, v159, v15                               // 000000023908: 021E1F9F
	v_add_f32_e32 v40, v15, v40                                // 00000002390C: 0250510F
	s_waitcnt lgkmcnt(0)                                       // 000000023910: BF8CC07F
	v_max3_f32 v48, |v64|, |v65|, v48                          // 000000023914: D1D30330 04C28340
	v_max3_f32 v48, |v66|, |v67|, v48                          // 00000002391C: D1D30330 04C28742
	v_max3_f32 v48, |v68|, |v69|, v48                          // 000000023924: D1D30330 04C28B44
	v_max3_f32 v48, |v70|, |v71|, v48                          // 00000002392C: D1D30330 04C28F46
	v_max3_f32 v48, |v72|, |v73|, v48                          // 000000023934: D1D30330 04C29348
	v_max3_f32 v48, |v74|, |v75|, v48                          // 00000002393C: D1D30330 04C2974A
	v_max3_f32 v48, |v76|, |v77|, v48                          // 000000023944: D1D30330 04C29B4C
	v_max3_f32 v48, |v78|, |v79|, v48                          // 00000002394C: D1D30330 04C29F4E
	s_nop 2                                                    // 000000023954: BF800002
	v_rcp_f32_e32 v48, v48                                     // 000000023958: 7E604530
	s_nop 1                                                    // 00000002395C: BF800001
	v_mul_f32_e32 v48, 0x43e00000, v48                         // 000000023960: 0A6060FF 43E00000
	v_mul_f32_e32 v144, v48, v240                              // 000000023968: 0B21E130
	v_mul_f32_e32 v145, v48, v241                              // 00000002396C: 0B23E330
	v_mul_f32_e32 v146, v48, v242                              // 000000023970: 0B25E530
	v_mul_f32_e32 v147, v48, v243                              // 000000023974: 0B27E730
	v_mul_f32_e32 v148, v48, v244                              // 000000023978: 0B29E930
	v_mul_f32_e32 v149, v48, v245                              // 00000002397C: 0B2BEB30
	v_mul_f32_e32 v150, v48, v246                              // 000000023980: 0B2DED30
	v_mul_f32_e32 v151, v48, v247                              // 000000023984: 0B2FEF30
	v_mul_f32_e32 v152, v48, v248                              // 000000023988: 0B31F130
	v_mul_f32_e32 v153, v48, v249                              // 00000002398C: 0B33F330
	v_mul_f32_e32 v154, v48, v250                              // 000000023990: 0B35F530
	v_mul_f32_e32 v155, v48, v251                              // 000000023994: 0B37F730
	v_mul_f32_e32 v156, v48, v252                              // 000000023998: 0B39F930
	v_mul_f32_e32 v157, v48, v253                              // 00000002399C: 0B3BFB30
	v_mul_f32_e32 v158, v48, v254                              // 0000000239A0: 0B3DFD30
	v_mul_f32_e32 v159, v48, v255                              // 0000000239A4: 0B3FFF30
	v_cvt_pk_fp8_f32 v144, v144, v145                          // 0000000239A8: D2A20090 00032390
	v_cvt_pk_fp8_f32 v144, v146, v147 op_sel:[0,0,1]           // 0000000239B0: D2A24090 00032792
	v_cvt_pk_fp8_f32 v145, v148, v149                          // 0000000239B8: D2A20091 00032B94
	v_cvt_pk_fp8_f32 v145, v150, v151 op_sel:[0,0,1]           // 0000000239C0: D2A24091 00032F96
	v_cvt_pk_fp8_f32 v146, v152, v153                          // 0000000239C8: D2A20092 00033398
	v_cvt_pk_fp8_f32 v146, v154, v155 op_sel:[0,0,1]           // 0000000239D0: D2A24092 0003379A
	v_cvt_pk_fp8_f32 v147, v156, v157                          // 0000000239D8: D2A20093 00033B9C
	v_cvt_pk_fp8_f32 v147, v158, v159 op_sel:[0,0,1]           // 0000000239E0: D2A24093 00033F9E
	ds_write_b32 v10, v144 offset:33280                        // 0000000239E8: D81A8200 0000900A
	ds_write_b32 v10, v145 offset:34304                        // 0000000239F0: D81A8600 0000910A
	ds_write_b32 v10, v146 offset:35328                        // 0000000239F8: D81A8A00 0000920A
	ds_write_b32 v10, v147 offset:36352                        // 000000023A00: D81A8E00 0000930A
	v_add_f32_e32 v224, v224, v192                             // 000000023A08: 03C181E0
	v_add_f32_e32 v225, v225, v193                             // 000000023A0C: 03C383E1
	v_add_f32_e32 v226, v226, v194                             // 000000023A10: 03C585E2
	v_add_f32_e32 v227, v227, v195                             // 000000023A14: 03C787E3
	v_add_f32_e32 v228, v228, v196                             // 000000023A18: 03C989E4
	v_add_f32_e32 v229, v229, v197                             // 000000023A1C: 03CB8BE5
	v_add_f32_e32 v230, v230, v198                             // 000000023A20: 03CD8DE6
	v_add_f32_e32 v231, v231, v199                             // 000000023A24: 03CF8FE7
	v_rcp_f32_e32 v46, v48                                     // 000000023A28: 7E5C4530
	s_waitcnt lgkmcnt(0)                                       // 000000023A2C: BF8CC07F
	s_barrier                                                  // 000000023A30: BF8A0000
	ds_read_b64 v[144:145], v9 offset:33280                    // 000000023A34: D8EC8200 90000009
	ds_read_b64 v[146:147], v9 offset:33408                    // 000000023A3C: D8EC8280 92000009
	ds_read_b64 v[148:149], v9 offset:34304                    // 000000023A44: D8EC8600 94000009
	ds_read_b64 v[150:151], v9 offset:34432                    // 000000023A4C: D8EC8680 96000009
	ds_read_b64 v[152:153], v9 offset:35328                    // 000000023A54: D8EC8A00 98000009
	ds_read_b64 v[154:155], v9 offset:35456                    // 000000023A5C: D8EC8A80 9A000009
	ds_read_b64 v[156:157], v9 offset:36352                    // 000000023A64: D8EC8E00 9C000009
	ds_read_b64 v[158:159], v9 offset:36480                    // 000000023A6C: D8EC8E80 9E000009
	v_mov_b32_dpp v64, v42 row_shr:4 row_mask:0xf bank_mask:0xf// 000000023A74: 7E8002FA FF01142A
	v_mov_b32_dpp v65, v42 row_shl:4 row_mask:0xf bank_mask:0xf// 000000023A7C: 7E8202FA FF01042A
	v_cndmask_b32_e64 v248, v42, v64, s[44:45]                 // 000000023A84: D10000F8 00B2812A
	v_cndmask_b32_e64 v249, v65, v42, s[44:45]                 // 000000023A8C: D10000F9 00B25541
	v_mov_b32_dpp v64, v248 row_shr:8 row_mask:0xf bank_mask:0xf// 000000023A94: 7E8002FA FF0118F8
	v_mov_b32_dpp v65, v248 row_shl:8 row_mask:0xf bank_mask:0xf// 000000023A9C: 7E8202FA FF0108F8
	v_mov_b32_dpp v66, v249 row_shr:8 row_mask:0xf bank_mask:0xf// 000000023AA4: 7E8402FA FF0118F9
	v_mov_b32_dpp v67, v249 row_shl:8 row_mask:0xf bank_mask:0xf// 000000023AAC: 7E8602FA FF0108F9
	v_mov_b32_e32 v68, v248                                    // 000000023AB4: 7E8803F8
	v_mov_b32_e32 v69, v249                                    // 000000023AB8: 7E8A03F9
	v_cndmask_b32_e64 v248, v68, v64, s[42:43]                 // 000000023ABC: D10000F8 00AA8144
	v_cndmask_b32_e64 v250, v68, v65, s[78:79]                 // 000000023AC4: D10000FA 013A8344
	v_cndmask_b32_e64 v249, v69, v66, s[42:43]                 // 000000023ACC: D10000F9 00AA8545
	v_cndmask_b32_e64 v251, v69, v67, s[78:79]                 // 000000023AD4: D10000FB 013A8745
	v_mov_b32_dpp v64, v57 row_shr:4 row_mask:0xf bank_mask:0xf// 000000023ADC: 7E8002FA FF011439
	v_mov_b32_dpp v65, v57 row_shl:4 row_mask:0xf bank_mask:0xf// 000000023AE4: 7E8202FA FF010439
	v_cndmask_b32_e64 v252, v57, v64, s[44:45]                 // 000000023AEC: D10000FC 00B28139
	v_cndmask_b32_e64 v253, v65, v57, s[44:45]                 // 000000023AF4: D10000FD 00B27341
	v_mov_b32_dpp v64, v252 row_shr:8 row_mask:0xf bank_mask:0xf// 000000023AFC: 7E8002FA FF0118FC
	v_mov_b32_dpp v65, v252 row_shl:8 row_mask:0xf bank_mask:0xf// 000000023B04: 7E8202FA FF0108FC
	v_mov_b32_dpp v66, v253 row_shr:8 row_mask:0xf bank_mask:0xf// 000000023B0C: 7E8402FA FF0118FD
	v_mov_b32_dpp v67, v253 row_shl:8 row_mask:0xf bank_mask:0xf// 000000023B14: 7E8602FA FF0108FD
	v_mov_b32_e32 v68, v252                                    // 000000023B1C: 7E8803FC
	v_mov_b32_e32 v69, v253                                    // 000000023B20: 7E8A03FD
	v_cndmask_b32_e64 v252, v68, v64, s[42:43]                 // 000000023B24: D10000FC 00AA8144
	v_cndmask_b32_e64 v254, v68, v65, s[78:79]                 // 000000023B2C: D10000FE 013A8344
	v_cndmask_b32_e64 v253, v69, v66, s[42:43]                 // 000000023B34: D10000FD 00AA8545
	v_cndmask_b32_e64 v255, v69, v67, s[78:79]                 // 000000023B3C: D10000FF 013A8745
	v_mul_f32_e32 v160, v21, v160                              // 000000023B44: 0B414115
	v_mul_f32_e32 v161, v21, v161                              // 000000023B48: 0B434315
	v_mul_f32_e32 v162, v21, v162                              // 000000023B4C: 0B454515
	v_mul_f32_e32 v163, v21, v163                              // 000000023B50: 0B474715
	v_mul_f32_e32 v164, v21, v164                              // 000000023B54: 0B494915
	v_mul_f32_e32 v165, v21, v165                              // 000000023B58: 0B4B4B15
	v_mul_f32_e32 v166, v21, v166                              // 000000023B5C: 0B4D4D15
	v_mul_f32_e32 v167, v21, v167                              // 000000023B60: 0B4F4F15
	v_mul_f32_e32 v168, v21, v168                              // 000000023B64: 0B515115
	v_mul_f32_e32 v169, v21, v169                              // 000000023B68: 0B535315
	v_mul_f32_e32 v170, v21, v170                              // 000000023B6C: 0B555515
	v_mul_f32_e32 v171, v21, v171                              // 000000023B70: 0B575715
	v_mul_f32_e32 v172, v21, v172                              // 000000023B74: 0B595915
	v_mul_f32_e32 v173, v21, v173                              // 000000023B78: 0B5B5B15
	v_mul_f32_e32 v174, v21, v174                              // 000000023B7C: 0B5D5D15
	v_mul_f32_e32 v175, v21, v175                              // 000000023B80: 0B5F5F15
	v_mul_f32_dpp v160, v248, v160 quad_perm:[0,0,0,0] row_mask:0xf bank_mask:0xf// 000000023B84: 0B4140FA FF0000F8
	v_mul_f32_dpp v161, v248, v161 quad_perm:[1,1,1,1] row_mask:0xf bank_mask:0xf// 000000023B8C: 0B4342FA FF0055F8
	v_mul_f32_dpp v162, v248, v162 quad_perm:[2,2,2,2] row_mask:0xf bank_mask:0xf// 000000023B94: 0B4544FA FF00AAF8
	v_mul_f32_dpp v163, v248, v163 quad_perm:[3,3,3,3] row_mask:0xf bank_mask:0xf// 000000023B9C: 0B4746FA FF00FFF8
	v_mul_f32_dpp v164, v249, v164 quad_perm:[0,0,0,0] row_mask:0xf bank_mask:0xf// 000000023BA4: 0B4948FA FF0000F9
	v_mul_f32_dpp v165, v249, v165 quad_perm:[1,1,1,1] row_mask:0xf bank_mask:0xf// 000000023BAC: 0B4B4AFA FF0055F9
	v_mul_f32_dpp v166, v249, v166 quad_perm:[2,2,2,2] row_mask:0xf bank_mask:0xf// 000000023BB4: 0B4D4CFA FF00AAF9
	v_mul_f32_dpp v167, v249, v167 quad_perm:[3,3,3,3] row_mask:0xf bank_mask:0xf// 000000023BBC: 0B4F4EFA FF00FFF9
	v_mul_f32_dpp v168, v250, v168 quad_perm:[0,0,0,0] row_mask:0xf bank_mask:0xf// 000000023BC4: 0B5150FA FF0000FA
	v_mul_f32_dpp v169, v250, v169 quad_perm:[1,1,1,1] row_mask:0xf bank_mask:0xf// 000000023BCC: 0B5352FA FF0055FA
	v_mul_f32_dpp v170, v250, v170 quad_perm:[2,2,2,2] row_mask:0xf bank_mask:0xf// 000000023BD4: 0B5554FA FF00AAFA
	v_mul_f32_dpp v171, v250, v171 quad_perm:[3,3,3,3] row_mask:0xf bank_mask:0xf// 000000023BDC: 0B5756FA FF00FFFA
	v_mul_f32_dpp v172, v251, v172 quad_perm:[0,0,0,0] row_mask:0xf bank_mask:0xf// 000000023BE4: 0B5958FA FF0000FB
	v_mul_f32_dpp v173, v251, v173 quad_perm:[1,1,1,1] row_mask:0xf bank_mask:0xf// 000000023BEC: 0B5B5AFA FF0055FB
	v_mul_f32_dpp v174, v251, v174 quad_perm:[2,2,2,2] row_mask:0xf bank_mask:0xf// 000000023BF4: 0B5D5CFA FF00AAFB
	v_mul_f32_dpp v175, v251, v175 quad_perm:[3,3,3,3] row_mask:0xf bank_mask:0xf// 000000023BFC: 0B5F5EFA FF00FFFB
	s_and_b32 s60, s72, 0xff                                   // 000000023C04: 863CFF48 000000FF
	v_mov_b32_e32 v65, s60                                     // 000000023C0C: 7E82023C
	v_lshrrev_b32_e32 v240, 4, v0                              // 000000023C10: 21E00084
	v_mul_i32_i24_e32 v240, 4, v240                            // 000000023C14: 0DE1E084
	s_mul_i32 s60, s7, 16                                      // 000000023C18: 923C9007
	v_add_u32_e32 v240, s60, v240                              // 000000023C1C: 69E1E03C
	v_add_u32_e32 v241, 1, v240                                // 000000023C20: 69E3E081
	v_add_u32_e32 v242, 2, v240                                // 000000023C24: 69E5E082
	v_add_u32_e32 v243, 3, v240                                // 000000023C28: 69E7E083
	v_mov_b32_e32 v64, 0xff800000                              // 000000023C2C: 7E8002FF FF800000
	v_cmp_lt_u32_e64 s[40:41], v240, v65                       // 000000023C34: D0C90028 000283F0
	v_add_u32_e32 v240, 64, v240                               // 000000023C3C: 69E1E0C0
	s_nop 0                                                    // 000000023C40: BF800000
	v_cndmask_b32_e64 v160, v64, v160, s[40:41]                // 000000023C44: D10000A0 00A34140
	v_cmp_lt_u32_e64 s[40:41], v241, v65                       // 000000023C4C: D0C90028 000283F1
	v_add_u32_e32 v241, 64, v241                               // 000000023C54: 69E3E2C0
	s_nop 0                                                    // 000000023C58: BF800000
	v_cndmask_b32_e64 v161, v64, v161, s[40:41]                // 000000023C5C: D10000A1 00A34340
	v_cmp_lt_u32_e64 s[40:41], v242, v65                       // 000000023C64: D0C90028 000283F2
	v_add_u32_e32 v242, 64, v242                               // 000000023C6C: 69E5E4C0
	s_nop 0                                                    // 000000023C70: BF800000
	v_cndmask_b32_e64 v162, v64, v162, s[40:41]                // 000000023C74: D10000A2 00A34540
	v_cmp_lt_u32_e64 s[40:41], v243, v65                       // 000000023C7C: D0C90028 000283F3
	v_add_u32_e32 v243, 64, v243                               // 000000023C84: 69E7E6C0
	s_nop 0                                                    // 000000023C88: BF800000
	v_cndmask_b32_e64 v163, v64, v163, s[40:41]                // 000000023C8C: D10000A3 00A34740
	v_cmp_lt_u32_e64 s[40:41], v240, v65                       // 000000023C94: D0C90028 000283F0
	v_add_u32_e32 v240, 64, v240                               // 000000023C9C: 69E1E0C0
	s_nop 0                                                    // 000000023CA0: BF800000
	v_cndmask_b32_e64 v164, v64, v164, s[40:41]                // 000000023CA4: D10000A4 00A34940
	v_cmp_lt_u32_e64 s[40:41], v241, v65                       // 000000023CAC: D0C90028 000283F1
	v_add_u32_e32 v241, 64, v241                               // 000000023CB4: 69E3E2C0
	s_nop 0                                                    // 000000023CB8: BF800000
	v_cndmask_b32_e64 v165, v64, v165, s[40:41]                // 000000023CBC: D10000A5 00A34B40
	v_cmp_lt_u32_e64 s[40:41], v242, v65                       // 000000023CC4: D0C90028 000283F2
	v_add_u32_e32 v242, 64, v242                               // 000000023CCC: 69E5E4C0
	s_nop 0                                                    // 000000023CD0: BF800000
	v_cndmask_b32_e64 v166, v64, v166, s[40:41]                // 000000023CD4: D10000A6 00A34D40
	v_cmp_lt_u32_e64 s[40:41], v243, v65                       // 000000023CDC: D0C90028 000283F3
	v_add_u32_e32 v243, 64, v243                               // 000000023CE4: 69E7E6C0
	s_nop 0                                                    // 000000023CE8: BF800000
	v_cndmask_b32_e64 v167, v64, v167, s[40:41]                // 000000023CEC: D10000A7 00A34F40
	v_cmp_lt_u32_e64 s[40:41], v240, v65                       // 000000023CF4: D0C90028 000283F0
	v_add_u32_e32 v240, 64, v240                               // 000000023CFC: 69E1E0C0
	s_nop 0                                                    // 000000023D00: BF800000
	v_cndmask_b32_e64 v168, v64, v168, s[40:41]                // 000000023D04: D10000A8 00A35140
	v_cmp_lt_u32_e64 s[40:41], v241, v65                       // 000000023D0C: D0C90028 000283F1
	v_add_u32_e32 v241, 64, v241                               // 000000023D14: 69E3E2C0
	s_nop 0                                                    // 000000023D18: BF800000
	v_cndmask_b32_e64 v169, v64, v169, s[40:41]                // 000000023D1C: D10000A9 00A35340
	v_cmp_lt_u32_e64 s[40:41], v242, v65                       // 000000023D24: D0C90028 000283F2
	v_add_u32_e32 v242, 64, v242                               // 000000023D2C: 69E5E4C0
	s_nop 0                                                    // 000000023D30: BF800000
	v_cndmask_b32_e64 v170, v64, v170, s[40:41]                // 000000023D34: D10000AA 00A35540
	v_cmp_lt_u32_e64 s[40:41], v243, v65                       // 000000023D3C: D0C90028 000283F3
	v_add_u32_e32 v243, 64, v243                               // 000000023D44: 69E7E6C0
	s_nop 0                                                    // 000000023D48: BF800000
	v_cndmask_b32_e64 v171, v64, v171, s[40:41]                // 000000023D4C: D10000AB 00A35740
	v_cmp_lt_u32_e64 s[40:41], v240, v65                       // 000000023D54: D0C90028 000283F0
	v_add_u32_e32 v240, 64, v240                               // 000000023D5C: 69E1E0C0
	s_nop 0                                                    // 000000023D60: BF800000
	v_cndmask_b32_e64 v172, v64, v172, s[40:41]                // 000000023D64: D10000AC 00A35940
	v_cmp_lt_u32_e64 s[40:41], v241, v65                       // 000000023D6C: D0C90028 000283F1
	v_add_u32_e32 v241, 64, v241                               // 000000023D74: 69E3E2C0
	s_nop 0                                                    // 000000023D78: BF800000
	v_cndmask_b32_e64 v173, v64, v173, s[40:41]                // 000000023D7C: D10000AD 00A35B40
	v_cmp_lt_u32_e64 s[40:41], v242, v65                       // 000000023D84: D0C90028 000283F2
	v_add_u32_e32 v242, 64, v242                               // 000000023D8C: 69E5E4C0
	s_nop 0                                                    // 000000023D90: BF800000
	v_cndmask_b32_e64 v174, v64, v174, s[40:41]                // 000000023D94: D10000AE 00A35D40
	v_cmp_lt_u32_e64 s[40:41], v243, v65                       // 000000023D9C: D0C90028 000283F3
	v_add_u32_e32 v243, 64, v243                               // 000000023DA4: 69E7E6C0
	s_nop 0                                                    // 000000023DA8: BF800000
	v_cndmask_b32_e64 v175, v64, v175, s[40:41]                // 000000023DAC: D10000AF 00A35F40
	v_mov_b32_e32 v48, v160                                    // 000000023DB4: 7E6003A0
	v_max3_f32 v48, v160, v161, v48                            // 000000023DB8: D1D30030 04C343A0
	v_max3_f32 v48, v162, v163, v48                            // 000000023DC0: D1D30030 04C347A2
	v_max3_f32 v48, v164, v165, v48                            // 000000023DC8: D1D30030 04C34BA4
	v_max3_f32 v48, v166, v167, v48                            // 000000023DD0: D1D30030 04C34FA6
	v_max3_f32 v48, v168, v169, v48                            // 000000023DD8: D1D30030 04C353A8
	v_max3_f32 v48, v170, v171, v48                            // 000000023DE0: D1D30030 04C357AA
	v_max3_f32 v48, v172, v173, v48                            // 000000023DE8: D1D30030 04C35BAC
	v_max3_f32 v48, v174, v175, v48                            // 000000023DF0: D1D30030 04C35FAE
	ds_write_b32 v8, v48 offset:16896                          // 000000023DF8: D81A4200 00003008
	v_mul_f32_e32 v232, v52, v232                              // 000000023E00: 0BD1D134
	v_mul_f32_e32 v233, v52, v233                              // 000000023E04: 0BD3D334
	v_mul_f32_e32 v234, v52, v234                              // 000000023E08: 0BD5D534
	v_mul_f32_e32 v235, v52, v235                              // 000000023E0C: 0BD7D734
	v_mul_f32_e32 v236, v52, v236                              // 000000023E10: 0BD9D934
	v_mul_f32_e32 v237, v52, v237                              // 000000023E14: 0BDBDB34
	v_mul_f32_e32 v238, v52, v238                              // 000000023E18: 0BDDDD34
	v_mul_f32_e32 v239, v52, v239                              // 000000023E1C: 0BDFDF34
	s_waitcnt lgkmcnt(0)                                       // 000000023E20: BF8CC07F
	s_barrier                                                  // 000000023E24: BF8A0000
	ds_read_b32 v64, v7 offset:16896                           // 000000023E28: D86C4200 40000007
	ds_read_b32 v65, v7 offset:16960                           // 000000023E30: D86C4240 41000007
	ds_read_b32 v66, v7 offset:17024                           // 000000023E38: D86C4280 42000007
	ds_read_b32 v67, v7 offset:17088                           // 000000023E40: D86C42C0 43000007
	ds_read_b32 v68, v7 offset:17152                           // 000000023E48: D86C4300 44000007
	ds_read_b32 v69, v7 offset:17216                           // 000000023E50: D86C4340 45000007
	ds_read_b32 v70, v7 offset:17280                           // 000000023E58: D86C4380 46000007
	ds_read_b32 v71, v7 offset:17344                           // 000000023E60: D86C43C0 47000007
	ds_read_b32 v72, v7 offset:17408                           // 000000023E68: D86C4400 48000007
	ds_read_b32 v73, v7 offset:17472                           // 000000023E70: D86C4440 49000007
	ds_read_b32 v74, v7 offset:17536                           // 000000023E78: D86C4480 4A000007
	ds_read_b32 v75, v7 offset:17600                           // 000000023E80: D86C44C0 4B000007
	ds_read_b32 v76, v7 offset:17664                           // 000000023E88: D86C4500 4C000007
	ds_read_b32 v77, v7 offset:17728                           // 000000023E90: D86C4540 4D000007
	ds_read_b32 v78, v7 offset:17792                           // 000000023E98: D86C4580 4E000007
	ds_read_b32 v79, v7 offset:17856                           // 000000023EA0: D86C45C0 4F000007
	v_mul_f32_e32 v200, v47, v200                              // 000000023EA8: 0B91912F
	v_mul_f32_e32 v201, v47, v201                              // 000000023EAC: 0B93932F
	v_mul_f32_e32 v202, v47, v202                              // 000000023EB0: 0B95952F
	v_mul_f32_e32 v203, v47, v203                              // 000000023EB4: 0B97972F
	v_mul_f32_e32 v204, v47, v204                              // 000000023EB8: 0B99992F
	v_mul_f32_e32 v205, v47, v205                              // 000000023EBC: 0B9B9B2F
	v_mul_f32_e32 v206, v47, v206                              // 000000023EC0: 0B9D9D2F
	v_mul_f32_e32 v207, v47, v207                              // 000000023EC4: 0B9F9F2F
	s_waitcnt lgkmcnt(0)                                       // 000000023EC8: BF8CC07F
	v_max3_f32 v48, v64, v65, v48                              // 000000023ECC: D1D30030 04C28340
	v_max3_f32 v48, v66, v67, v48                              // 000000023ED4: D1D30030 04C28742
	v_max3_f32 v48, v68, v69, v48                              // 000000023EDC: D1D30030 04C28B44
	v_max3_f32 v48, v70, v71, v48                              // 000000023EE4: D1D30030 04C28F46
	v_max3_f32 v48, v72, v73, v48                              // 000000023EEC: D1D30030 04C29348
	v_max3_f32 v48, v74, v75, v48                              // 000000023EF4: D1D30030 04C2974A
	v_max3_f32 v48, v76, v77, v48                              // 000000023EFC: D1D30030 04C29B4C
	v_max3_f32 v48, v78, v79, v48                              // 000000023F04: D1D30030 04C29F4E
	v_mov_b32_e32 v64, 0xff800000                              // 000000023F0C: 7E8002FF FF800000
	v_cmp_eq_u32_e64 s[40:41], v64, v14                        // 000000023F14: D0CA0028 00021D40
	s_nop 1                                                    // 000000023F1C: BF800001
	v_max_f32_e32 v15, v48, v14                                // 000000023F20: 161E1D30
	v_mul_f32_e32 v53, s64, v15                                // 000000023F24: 0A6A1E40
	v_fma_f32 v160, v160, s64, -v53                            // 000000023F28: D1CB00A0 84D481A0
	v_fma_f32 v161, v161, s64, -v53                            // 000000023F30: D1CB00A1 84D481A1
	v_fma_f32 v162, v162, s64, -v53                            // 000000023F38: D1CB00A2 84D481A2
	v_fma_f32 v163, v163, s64, -v53                            // 000000023F40: D1CB00A3 84D481A3
	v_fma_f32 v164, v164, s64, -v53                            // 000000023F48: D1CB00A4 84D481A4
	v_fma_f32 v165, v165, s64, -v53                            // 000000023F50: D1CB00A5 84D481A5
	v_fma_f32 v166, v166, s64, -v53                            // 000000023F58: D1CB00A6 84D481A6
	v_fma_f32 v167, v167, s64, -v53                            // 000000023F60: D1CB00A7 84D481A7
	v_fma_f32 v168, v168, s64, -v53                            // 000000023F68: D1CB00A8 84D481A8
	v_fma_f32 v169, v169, s64, -v53                            // 000000023F70: D1CB00A9 84D481A9
	v_fma_f32 v170, v170, s64, -v53                            // 000000023F78: D1CB00AA 84D481AA
	v_fma_f32 v171, v171, s64, -v53                            // 000000023F80: D1CB00AB 84D481AB
	v_fma_f32 v172, v172, s64, -v53                            // 000000023F88: D1CB00AC 84D481AC
	v_fma_f32 v173, v173, s64, -v53                            // 000000023F90: D1CB00AD 84D481AD
	v_fma_f32 v174, v174, s64, -v53                            // 000000023F98: D1CB00AE 84D481AE
	v_fma_f32 v175, v175, s64, -v53                            // 000000023FA0: D1CB00AF 84D481AF
	v_exp_f32_e32 v160, v160                                   // 000000023FA8: 7F4041A0
	v_exp_f32_e32 v161, v161                                   // 000000023FAC: 7F4241A1
	v_exp_f32_e32 v162, v162                                   // 000000023FB0: 7F4441A2
	v_exp_f32_e32 v163, v163                                   // 000000023FB4: 7F4641A3
	v_exp_f32_e32 v164, v164                                   // 000000023FB8: 7F4841A4
	v_exp_f32_e32 v165, v165                                   // 000000023FBC: 7F4A41A5
	v_exp_f32_e32 v166, v166                                   // 000000023FC0: 7F4C41A6
	v_exp_f32_e32 v167, v167                                   // 000000023FC4: 7F4E41A7
	v_exp_f32_e32 v168, v168                                   // 000000023FC8: 7F5041A8
	v_exp_f32_e32 v169, v169                                   // 000000023FCC: 7F5241A9
	v_exp_f32_e32 v170, v170                                   // 000000023FD0: 7F5441AA
	v_exp_f32_e32 v171, v171                                   // 000000023FD4: 7F5641AB
	v_exp_f32_e32 v172, v172                                   // 000000023FD8: 7F5841AC
	v_exp_f32_e32 v173, v173                                   // 000000023FDC: 7F5A41AD
	v_exp_f32_e32 v174, v174                                   // 000000023FE0: 7F5C41AE
	v_exp_f32_e32 v175, v175                                   // 000000023FE4: 7F5E41AF
	v_mul_f32_dpp v240, v252, v160 quad_perm:[0,0,0,0] row_mask:0xf bank_mask:0xf// 000000023FE8: 0BE140FA FF0000FC
	v_mul_f32_dpp v241, v252, v161 quad_perm:[1,1,1,1] row_mask:0xf bank_mask:0xf// 000000023FF0: 0BE342FA FF0055FC
	v_mul_f32_dpp v242, v252, v162 quad_perm:[2,2,2,2] row_mask:0xf bank_mask:0xf// 000000023FF8: 0BE544FA FF00AAFC
	v_mul_f32_dpp v243, v252, v163 quad_perm:[3,3,3,3] row_mask:0xf bank_mask:0xf// 000000024000: 0BE746FA FF00FFFC
	v_mul_f32_dpp v244, v253, v164 quad_perm:[0,0,0,0] row_mask:0xf bank_mask:0xf// 000000024008: 0BE948FA FF0000FD
	v_mul_f32_dpp v245, v253, v165 quad_perm:[1,1,1,1] row_mask:0xf bank_mask:0xf// 000000024010: 0BEB4AFA FF0055FD
	v_mul_f32_dpp v246, v253, v166 quad_perm:[2,2,2,2] row_mask:0xf bank_mask:0xf// 000000024018: 0BED4CFA FF00AAFD
	v_mul_f32_dpp v247, v253, v167 quad_perm:[3,3,3,3] row_mask:0xf bank_mask:0xf// 000000024020: 0BEF4EFA FF00FFFD
	v_mul_f32_dpp v248, v254, v168 quad_perm:[0,0,0,0] row_mask:0xf bank_mask:0xf// 000000024028: 0BF150FA FF0000FE
	v_mul_f32_dpp v249, v254, v169 quad_perm:[1,1,1,1] row_mask:0xf bank_mask:0xf// 000000024030: 0BF352FA FF0055FE
	v_mul_f32_dpp v250, v254, v170 quad_perm:[2,2,2,2] row_mask:0xf bank_mask:0xf// 000000024038: 0BF554FA FF00AAFE
	v_mul_f32_dpp v251, v254, v171 quad_perm:[3,3,3,3] row_mask:0xf bank_mask:0xf// 000000024040: 0BF756FA FF00FFFE
	v_mul_f32_dpp v252, v255, v172 quad_perm:[0,0,0,0] row_mask:0xf bank_mask:0xf// 000000024048: 0BF958FA FF0000FF
	v_mul_f32_dpp v253, v255, v173 quad_perm:[1,1,1,1] row_mask:0xf bank_mask:0xf// 000000024050: 0BFB5AFA FF0055FF
	v_mul_f32_dpp v254, v255, v174 quad_perm:[2,2,2,2] row_mask:0xf bank_mask:0xf// 000000024058: 0BFD5CFA FF00AAFF
	v_mul_f32_dpp v255, v255, v175 quad_perm:[3,3,3,3] row_mask:0xf bank_mask:0xf// 000000024060: 0BFF5EFA FF00FFFF
	v_mov_b32_e32 v48, 0x358637bd                              // 000000024068: 7E6002FF 358637BD
	v_max3_f32 v48, |v240|, |v241|, v48                        // 000000024070: D1D30330 04C3E3F0
	v_max3_f32 v48, |v242|, |v243|, v48                        // 000000024078: D1D30330 04C3E7F2
	v_max3_f32 v48, |v244|, |v245|, v48                        // 000000024080: D1D30330 04C3EBF4
	v_max3_f32 v48, |v246|, |v247|, v48                        // 000000024088: D1D30330 04C3EFF6
	v_max3_f32 v48, |v248|, |v249|, v48                        // 000000024090: D1D30330 04C3F3F8
	v_max3_f32 v48, |v250|, |v251|, v48                        // 000000024098: D1D30330 04C3F7FA
	v_max3_f32 v48, |v252|, |v253|, v48                        // 0000000240A0: D1D30330 04C3FBFC
	v_max3_f32 v48, |v254|, |v255|, v48                        // 0000000240A8: D1D30330 04C3FFFE
	ds_write_b32 v8, v48 offset:20992                          // 0000000240B0: D81A5200 00003008
	v_sub_f32_e32 v52, v14, v15                                // 0000000240B8: 04681F0E
	v_cndmask_b32_e64 v52, v52, 0, s[40:41]                    // 0000000240BC: D1000034 00A10134
	v_mov_b32_e32 v14, v15                                     // 0000000240C4: 7E1C030F
	v_mul_f32_e32 v52, s64, v52                                // 0000000240C8: 0A686840
	v_exp_f32_e32 v52, v52                                     // 0000000240CC: 7E684134
	s_waitcnt lgkmcnt(0)                                       // 0000000240D0: BF8CC07F
	s_barrier                                                  // 0000000240D4: BF8A0000
	ds_read_b32 v64, v7 offset:20992                           // 0000000240D8: D86C5200 40000007
	ds_read_b32 v65, v7 offset:21056                           // 0000000240E0: D86C5240 41000007
	ds_read_b32 v66, v7 offset:21120                           // 0000000240E8: D86C5280 42000007
	ds_read_b32 v67, v7 offset:21184                           // 0000000240F0: D86C52C0 43000007
	ds_read_b32 v68, v7 offset:21248                           // 0000000240F8: D86C5300 44000007
	ds_read_b32 v69, v7 offset:21312                           // 000000024100: D86C5340 45000007
	ds_read_b32 v70, v7 offset:21376                           // 000000024108: D86C5380 46000007
	ds_read_b32 v71, v7 offset:21440                           // 000000024110: D86C53C0 47000007
	ds_read_b32 v72, v7 offset:21504                           // 000000024118: D86C5400 48000007
	ds_read_b32 v73, v7 offset:21568                           // 000000024120: D86C5440 49000007
	ds_read_b32 v74, v7 offset:21632                           // 000000024128: D86C5480 4A000007
	ds_read_b32 v75, v7 offset:21696                           // 000000024130: D86C54C0 4B000007
	ds_read_b32 v76, v7 offset:21760                           // 000000024138: D86C5500 4C000007
	ds_read_b32 v77, v7 offset:21824                           // 000000024140: D86C5540 4D000007
	ds_read_b32 v78, v7 offset:21888                           // 000000024148: D86C5580 4E000007
	ds_read_b32 v79, v7 offset:21952                           // 000000024150: D86C55C0 4F000007
	v_mul_f32_e32 v41, v52, v41                                // 000000024158: 0A525334
	v_mov_b32_e32 v15, v160                                    // 00000002415C: 7E1E03A0
	v_add_f32_e32 v15, v161, v15                               // 000000024160: 021E1FA1
	v_add_f32_e32 v15, v162, v15                               // 000000024164: 021E1FA2
	v_add_f32_e32 v15, v163, v15                               // 000000024168: 021E1FA3
	v_add_f32_e32 v15, v164, v15                               // 00000002416C: 021E1FA4
	v_add_f32_e32 v15, v165, v15                               // 000000024170: 021E1FA5
	v_add_f32_e32 v15, v166, v15                               // 000000024174: 021E1FA6
	v_add_f32_e32 v15, v167, v15                               // 000000024178: 021E1FA7
	v_add_f32_e32 v15, v168, v15                               // 00000002417C: 021E1FA8
	v_add_f32_e32 v15, v169, v15                               // 000000024180: 021E1FA9
	v_add_f32_e32 v15, v170, v15                               // 000000024184: 021E1FAA
	v_add_f32_e32 v15, v171, v15                               // 000000024188: 021E1FAB
	v_add_f32_e32 v15, v172, v15                               // 00000002418C: 021E1FAC
	v_add_f32_e32 v15, v173, v15                               // 000000024190: 021E1FAD
	v_add_f32_e32 v15, v174, v15                               // 000000024194: 021E1FAE
	v_add_f32_e32 v15, v175, v15                               // 000000024198: 021E1FAF
	v_add_f32_e32 v41, v15, v41                                // 00000002419C: 0252530F
	s_waitcnt lgkmcnt(0)                                       // 0000000241A0: BF8CC07F
	v_max3_f32 v48, |v64|, |v65|, v48                          // 0000000241A4: D1D30330 04C28340
	v_max3_f32 v48, |v66|, |v67|, v48                          // 0000000241AC: D1D30330 04C28742
	v_max3_f32 v48, |v68|, |v69|, v48                          // 0000000241B4: D1D30330 04C28B44
	v_max3_f32 v48, |v70|, |v71|, v48                          // 0000000241BC: D1D30330 04C28F46
	v_max3_f32 v48, |v72|, |v73|, v48                          // 0000000241C4: D1D30330 04C29348
	v_max3_f32 v48, |v74|, |v75|, v48                          // 0000000241CC: D1D30330 04C2974A
	v_max3_f32 v48, |v76|, |v77|, v48                          // 0000000241D4: D1D30330 04C29B4C
	v_max3_f32 v48, |v78|, |v79|, v48                          // 0000000241DC: D1D30330 04C29F4E
	s_nop 2                                                    // 0000000241E4: BF800002
	v_rcp_f32_e32 v48, v48                                     // 0000000241E8: 7E604530
	s_nop 1                                                    // 0000000241EC: BF800001
	v_mul_f32_e32 v48, 0x43e00000, v48                         // 0000000241F0: 0A6060FF 43E00000
	v_mul_f32_e32 v160, v48, v240                              // 0000000241F8: 0B41E130
	v_mul_f32_e32 v161, v48, v241                              // 0000000241FC: 0B43E330
	v_mul_f32_e32 v162, v48, v242                              // 000000024200: 0B45E530
	v_mul_f32_e32 v163, v48, v243                              // 000000024204: 0B47E730
	v_mul_f32_e32 v164, v48, v244                              // 000000024208: 0B49E930
	v_mul_f32_e32 v165, v48, v245                              // 00000002420C: 0B4BEB30
	v_mul_f32_e32 v166, v48, v246                              // 000000024210: 0B4DED30
	v_mul_f32_e32 v167, v48, v247                              // 000000024214: 0B4FEF30
	v_mul_f32_e32 v168, v48, v248                              // 000000024218: 0B51F130
	v_mul_f32_e32 v169, v48, v249                              // 00000002421C: 0B53F330
	v_mul_f32_e32 v170, v48, v250                              // 000000024220: 0B55F530
	v_mul_f32_e32 v171, v48, v251                              // 000000024224: 0B57F730
	v_mul_f32_e32 v172, v48, v252                              // 000000024228: 0B59F930
	v_mul_f32_e32 v173, v48, v253                              // 00000002422C: 0B5BFB30
	v_mul_f32_e32 v174, v48, v254                              // 000000024230: 0B5DFD30
	v_mul_f32_e32 v175, v48, v255                              // 000000024234: 0B5FFF30
	v_cvt_pk_fp8_f32 v160, v160, v161                          // 000000024238: D2A200A0 000343A0
	v_cvt_pk_fp8_f32 v160, v162, v163 op_sel:[0,0,1]           // 000000024240: D2A240A0 000347A2
	v_cvt_pk_fp8_f32 v161, v164, v165                          // 000000024248: D2A200A1 00034BA4
	v_cvt_pk_fp8_f32 v161, v166, v167 op_sel:[0,0,1]           // 000000024250: D2A240A1 00034FA6
	v_cvt_pk_fp8_f32 v162, v168, v169                          // 000000024258: D2A200A2 000353A8
	v_cvt_pk_fp8_f32 v162, v170, v171 op_sel:[0,0,1]           // 000000024260: D2A240A2 000357AA
	v_cvt_pk_fp8_f32 v163, v172, v173                          // 000000024268: D2A200A3 00035BAC
	v_cvt_pk_fp8_f32 v163, v174, v175 op_sel:[0,0,1]           // 000000024270: D2A240A3 00035FAE
	ds_write_b32 v10, v160 offset:37376                        // 000000024278: D81A9200 0000A00A
	ds_write_b32 v10, v161 offset:38400                        // 000000024280: D81A9600 0000A10A
	ds_write_b32 v10, v162 offset:39424                        // 000000024288: D81A9A00 0000A20A
	ds_write_b32 v10, v163 offset:40448                        // 000000024290: D81A9E00 0000A30A
	v_add_f32_e32 v232, v232, v200                             // 000000024298: 03D191E8
	v_add_f32_e32 v233, v233, v201                             // 00000002429C: 03D393E9
	v_add_f32_e32 v234, v234, v202                             // 0000000242A0: 03D595EA
	v_add_f32_e32 v235, v235, v203                             // 0000000242A4: 03D797EB
	v_add_f32_e32 v236, v236, v204                             // 0000000242A8: 03D999EC
	v_add_f32_e32 v237, v237, v205                             // 0000000242AC: 03DB9BED
	v_add_f32_e32 v238, v238, v206                             // 0000000242B0: 03DD9DEE
	v_add_f32_e32 v239, v239, v207                             // 0000000242B4: 03DF9FEF
	v_rcp_f32_e32 v47, v48                                     // 0000000242B8: 7E5E4530
	s_waitcnt lgkmcnt(0)                                       // 0000000242BC: BF8CC07F
	s_barrier                                                  // 0000000242C0: BF8A0000
	ds_read_b64 v[160:161], v9 offset:37376                    // 0000000242C4: D8EC9200 A0000009
	ds_read_b64 v[162:163], v9 offset:37504                    // 0000000242CC: D8EC9280 A2000009
	ds_read_b64 v[164:165], v9 offset:38400                    // 0000000242D4: D8EC9600 A4000009
	ds_read_b64 v[166:167], v9 offset:38528                    // 0000000242DC: D8EC9680 A6000009
	ds_read_b64 v[168:169], v9 offset:39424                    // 0000000242E4: D8EC9A00 A8000009
	ds_read_b64 v[170:171], v9 offset:39552                    // 0000000242EC: D8EC9A80 AA000009
	ds_read_b64 v[172:173], v9 offset:40448                    // 0000000242F4: D8EC9E00 AC000009
	ds_read_b64 v[174:175], v9 offset:40576                    // 0000000242FC: D8EC9E80 AE000009
	s_waitcnt vmcnt(0)                                         // 000000024304: BF8C0F70
	s_barrier                                                  // 000000024308: BF8A0000
	v_mfma_f32_16x16x32_fp8_fp8 v[176:179], a[64:65], v[112:113], 0// 00000002430C: D3F300B0 0A02E140
	v_mfma_f32_16x16x32_fp8_fp8 v[176:179], a[66:67], v[114:115], v[176:179]// 000000024314: D3F300B0 0EC2E542
	v_mfma_f32_16x16x32_fp8_fp8 v[176:179], a[68:69], v[116:117], v[176:179]// 00000002431C: D3F300B0 0EC2E944
	v_mfma_f32_16x16x32_fp8_fp8 v[176:179], a[70:71], v[118:119], v[176:179]// 000000024324: D3F300B0 0EC2ED46
	v_mfma_f32_16x16x32_fp8_fp8 v[176:179], a[72:73], v[120:121], v[176:179]// 00000002432C: D3F300B0 0EC2F148
	v_mfma_f32_16x16x32_fp8_fp8 v[176:179], a[74:75], v[122:123], v[176:179]// 000000024334: D3F300B0 0EC2F54A
	v_mfma_f32_16x16x32_fp8_fp8 v[176:179], a[76:77], v[124:125], v[176:179]// 00000002433C: D3F300B0 0EC2F94C
	v_mfma_f32_16x16x32_fp8_fp8 v[176:179], a[78:79], v[126:127], v[176:179]// 000000024344: D3F300B0 0EC2FD4E
	v_mfma_f32_16x16x32_fp8_fp8 v[180:183], a[80:81], v[112:113], 0// 00000002434C: D3F300B4 0A02E150
	v_mfma_f32_16x16x32_fp8_fp8 v[180:183], a[82:83], v[114:115], v[180:183]// 000000024354: D3F300B4 0ED2E552
	v_mfma_f32_16x16x32_fp8_fp8 v[180:183], a[84:85], v[116:117], v[180:183]// 00000002435C: D3F300B4 0ED2E954
	v_mfma_f32_16x16x32_fp8_fp8 v[180:183], a[86:87], v[118:119], v[180:183]// 000000024364: D3F300B4 0ED2ED56
	v_mfma_f32_16x16x32_fp8_fp8 v[180:183], a[88:89], v[120:121], v[180:183]// 00000002436C: D3F300B4 0ED2F158
	v_mfma_f32_16x16x32_fp8_fp8 v[180:183], a[90:91], v[122:123], v[180:183]// 000000024374: D3F300B4 0ED2F55A
	v_mfma_f32_16x16x32_fp8_fp8 v[180:183], a[92:93], v[124:125], v[180:183]// 00000002437C: D3F300B4 0ED2F95C
	v_mfma_f32_16x16x32_fp8_fp8 v[180:183], a[94:95], v[126:127], v[180:183]// 000000024384: D3F300B4 0ED2FD5E
	v_mfma_f32_16x16x32_fp8_fp8 v[184:187], a[64:65], v[128:129], 0// 00000002438C: D3F300B8 0A030140
	v_mfma_f32_16x16x32_fp8_fp8 v[184:187], a[66:67], v[130:131], v[184:187]// 000000024394: D3F300B8 0EE30542
	v_mfma_f32_16x16x32_fp8_fp8 v[184:187], a[68:69], v[132:133], v[184:187]// 00000002439C: D3F300B8 0EE30944
	v_mfma_f32_16x16x32_fp8_fp8 v[184:187], a[70:71], v[134:135], v[184:187]// 0000000243A4: D3F300B8 0EE30D46
	v_mfma_f32_16x16x32_fp8_fp8 v[184:187], a[72:73], v[136:137], v[184:187]// 0000000243AC: D3F300B8 0EE31148
	v_mfma_f32_16x16x32_fp8_fp8 v[184:187], a[74:75], v[138:139], v[184:187]// 0000000243B4: D3F300B8 0EE3154A
	v_mfma_f32_16x16x32_fp8_fp8 v[184:187], a[76:77], v[140:141], v[184:187]// 0000000243BC: D3F300B8 0EE3194C
	v_mfma_f32_16x16x32_fp8_fp8 v[184:187], a[78:79], v[142:143], v[184:187]// 0000000243C4: D3F300B8 0EE31D4E
	v_mfma_f32_16x16x32_fp8_fp8 v[188:191], a[80:81], v[128:129], 0// 0000000243CC: D3F300BC 0A030150
	v_mfma_f32_16x16x32_fp8_fp8 v[188:191], a[82:83], v[130:131], v[188:191]// 0000000243D4: D3F300BC 0EF30552
	v_mfma_f32_16x16x32_fp8_fp8 v[188:191], a[84:85], v[132:133], v[188:191]// 0000000243DC: D3F300BC 0EF30954
	v_mfma_f32_16x16x32_fp8_fp8 v[188:191], a[86:87], v[134:135], v[188:191]// 0000000243E4: D3F300BC 0EF30D56
	v_mfma_f32_16x16x32_fp8_fp8 v[188:191], a[88:89], v[136:137], v[188:191]// 0000000243EC: D3F300BC 0EF31158
	v_mfma_f32_16x16x32_fp8_fp8 v[188:191], a[90:91], v[138:139], v[188:191]// 0000000243F4: D3F300BC 0EF3155A
	v_mfma_f32_16x16x32_fp8_fp8 v[188:191], a[92:93], v[140:141], v[188:191]// 0000000243FC: D3F300BC 0EF3195C
	v_mfma_f32_16x16x32_fp8_fp8 v[188:191], a[94:95], v[142:143], v[188:191]// 000000024404: D3F300BC 0EF31D5E
	v_mfma_f32_16x16x32_fp8_fp8 v[192:195], a[64:65], v[144:145], 0// 00000002440C: D3F300C0 0A032140
	v_mfma_f32_16x16x32_fp8_fp8 v[192:195], a[66:67], v[146:147], v[192:195]// 000000024414: D3F300C0 0F032542
	v_mfma_f32_16x16x32_fp8_fp8 v[192:195], a[68:69], v[148:149], v[192:195]// 00000002441C: D3F300C0 0F032944
	v_mfma_f32_16x16x32_fp8_fp8 v[192:195], a[70:71], v[150:151], v[192:195]// 000000024424: D3F300C0 0F032D46
	v_mfma_f32_16x16x32_fp8_fp8 v[192:195], a[72:73], v[152:153], v[192:195]// 00000002442C: D3F300C0 0F033148
	v_mfma_f32_16x16x32_fp8_fp8 v[192:195], a[74:75], v[154:155], v[192:195]// 000000024434: D3F300C0 0F03354A
	v_mfma_f32_16x16x32_fp8_fp8 v[192:195], a[76:77], v[156:157], v[192:195]// 00000002443C: D3F300C0 0F03394C
	v_mfma_f32_16x16x32_fp8_fp8 v[192:195], a[78:79], v[158:159], v[192:195]// 000000024444: D3F300C0 0F033D4E
	v_mfma_f32_16x16x32_fp8_fp8 v[196:199], a[80:81], v[144:145], 0// 00000002444C: D3F300C4 0A032150
	v_mfma_f32_16x16x32_fp8_fp8 v[196:199], a[82:83], v[146:147], v[196:199]// 000000024454: D3F300C4 0F132552
	v_mfma_f32_16x16x32_fp8_fp8 v[196:199], a[84:85], v[148:149], v[196:199]// 00000002445C: D3F300C4 0F132954
	v_mfma_f32_16x16x32_fp8_fp8 v[196:199], a[86:87], v[150:151], v[196:199]// 000000024464: D3F300C4 0F132D56
	v_mfma_f32_16x16x32_fp8_fp8 v[196:199], a[88:89], v[152:153], v[196:199]// 00000002446C: D3F300C4 0F133158
	v_mfma_f32_16x16x32_fp8_fp8 v[196:199], a[90:91], v[154:155], v[196:199]// 000000024474: D3F300C4 0F13355A
	v_mfma_f32_16x16x32_fp8_fp8 v[196:199], a[92:93], v[156:157], v[196:199]// 00000002447C: D3F300C4 0F13395C
	v_mfma_f32_16x16x32_fp8_fp8 v[196:199], a[94:95], v[158:159], v[196:199]// 000000024484: D3F300C4 0F133D5E
	v_mfma_f32_16x16x32_fp8_fp8 v[200:203], a[64:65], v[160:161], 0// 00000002448C: D3F300C8 0A034140
	v_mfma_f32_16x16x32_fp8_fp8 v[200:203], a[66:67], v[162:163], v[200:203]// 000000024494: D3F300C8 0F234542
	v_mfma_f32_16x16x32_fp8_fp8 v[200:203], a[68:69], v[164:165], v[200:203]// 00000002449C: D3F300C8 0F234944
	v_mfma_f32_16x16x32_fp8_fp8 v[200:203], a[70:71], v[166:167], v[200:203]// 0000000244A4: D3F300C8 0F234D46
	v_mfma_f32_16x16x32_fp8_fp8 v[200:203], a[72:73], v[168:169], v[200:203]// 0000000244AC: D3F300C8 0F235148
	v_mfma_f32_16x16x32_fp8_fp8 v[200:203], a[74:75], v[170:171], v[200:203]// 0000000244B4: D3F300C8 0F23554A
	v_mfma_f32_16x16x32_fp8_fp8 v[200:203], a[76:77], v[172:173], v[200:203]// 0000000244BC: D3F300C8 0F23594C
	v_mfma_f32_16x16x32_fp8_fp8 v[200:203], a[78:79], v[174:175], v[200:203]// 0000000244C4: D3F300C8 0F235D4E
	v_mfma_f32_16x16x32_fp8_fp8 v[204:207], a[80:81], v[160:161], 0// 0000000244CC: D3F300CC 0A034150
	v_mfma_f32_16x16x32_fp8_fp8 v[204:207], a[82:83], v[162:163], v[204:207]// 0000000244D4: D3F300CC 0F334552
	v_mfma_f32_16x16x32_fp8_fp8 v[204:207], a[84:85], v[164:165], v[204:207]// 0000000244DC: D3F300CC 0F334954
	v_mfma_f32_16x16x32_fp8_fp8 v[204:207], a[86:87], v[166:167], v[204:207]// 0000000244E4: D3F300CC 0F334D56
	v_mfma_f32_16x16x32_fp8_fp8 v[204:207], a[88:89], v[168:169], v[204:207]// 0000000244EC: D3F300CC 0F335158
	v_mfma_f32_16x16x32_fp8_fp8 v[204:207], a[90:91], v[170:171], v[204:207]// 0000000244F4: D3F300CC 0F33555A
	v_mfma_f32_16x16x32_fp8_fp8 v[204:207], a[92:93], v[172:173], v[204:207]// 0000000244FC: D3F300CC 0F33595C
	v_mfma_f32_16x16x32_fp8_fp8 v[204:207], a[94:95], v[174:175], v[204:207]// 000000024504: D3F300CC 0F335D5E
	s_nop 4                                                    // 00000002450C: BF800004
	s_branch label_9267                                        // 000000024510: BF8209A2

0000000000024514 <label_88C5>:
	s_waitcnt vmcnt(8) lgkmcnt(0)                              // 000000024514: BF8C0078
	s_barrier                                                  // 000000024518: BF8A0000
	v_mfma_f32_16x16x32_fp8_fp8 v[112:115], a[32:33], v[80:81], 0// 00000002451C: D3F30070 0A02A120
	v_mfma_f32_16x16x32_fp8_fp8 v[112:115], a[34:35], v[82:83], v[112:115]// 000000024524: D3F30070 0DC2A522
	v_mfma_f32_16x16x32_fp8_fp8 v[112:115], a[36:37], v[84:85], v[112:115]// 00000002452C: D3F30070 0DC2A924
	v_mfma_f32_16x16x32_fp8_fp8 v[112:115], a[38:39], v[86:87], v[112:115]// 000000024534: D3F30070 0DC2AD26
	v_mfma_f32_16x16x32_fp8_fp8 v[116:119], a[40:41], v[80:81], 0// 00000002453C: D3F30074 0A02A128
	v_mfma_f32_16x16x32_fp8_fp8 v[116:119], a[42:43], v[82:83], v[116:119]// 000000024544: D3F30074 0DD2A52A
	v_mfma_f32_16x16x32_fp8_fp8 v[116:119], a[44:45], v[84:85], v[116:119]// 00000002454C: D3F30074 0DD2A92C
	v_mfma_f32_16x16x32_fp8_fp8 v[116:119], a[46:47], v[86:87], v[116:119]// 000000024554: D3F30074 0DD2AD2E
	v_mfma_f32_16x16x32_fp8_fp8 v[120:123], a[48:49], v[80:81], 0// 00000002455C: D3F30078 0A02A130
	v_mfma_f32_16x16x32_fp8_fp8 v[120:123], a[50:51], v[82:83], v[120:123]// 000000024564: D3F30078 0DE2A532
	v_mfma_f32_16x16x32_fp8_fp8 v[120:123], a[52:53], v[84:85], v[120:123]// 00000002456C: D3F30078 0DE2A934
	v_mfma_f32_16x16x32_fp8_fp8 v[120:123], a[54:55], v[86:87], v[120:123]// 000000024574: D3F30078 0DE2AD36
	v_mfma_f32_16x16x32_fp8_fp8 v[124:127], a[56:57], v[80:81], 0// 00000002457C: D3F3007C 0A02A138
	v_mfma_f32_16x16x32_fp8_fp8 v[124:127], a[58:59], v[82:83], v[124:127]// 000000024584: D3F3007C 0DF2A53A
	v_mfma_f32_16x16x32_fp8_fp8 v[124:127], a[60:61], v[84:85], v[124:127]// 00000002458C: D3F3007C 0DF2A93C
	v_mfma_f32_16x16x32_fp8_fp8 v[124:127], a[62:63], v[86:87], v[124:127]// 000000024594: D3F3007C 0DF2AD3E
	v_mfma_f32_16x16x32_fp8_fp8 v[128:131], a[32:33], v[88:89], 0// 00000002459C: D3F30080 0A02B120
	v_mfma_f32_16x16x32_fp8_fp8 v[128:131], a[34:35], v[90:91], v[128:131]// 0000000245A4: D3F30080 0E02B522
	v_mfma_f32_16x16x32_fp8_fp8 v[128:131], a[36:37], v[92:93], v[128:131]// 0000000245AC: D3F30080 0E02B924
	v_mfma_f32_16x16x32_fp8_fp8 v[128:131], a[38:39], v[94:95], v[128:131]// 0000000245B4: D3F30080 0E02BD26
	v_mfma_f32_16x16x32_fp8_fp8 v[132:135], a[40:41], v[88:89], 0// 0000000245BC: D3F30084 0A02B128
	v_mfma_f32_16x16x32_fp8_fp8 v[132:135], a[42:43], v[90:91], v[132:135]// 0000000245C4: D3F30084 0E12B52A
	v_mfma_f32_16x16x32_fp8_fp8 v[132:135], a[44:45], v[92:93], v[132:135]// 0000000245CC: D3F30084 0E12B92C
	v_mfma_f32_16x16x32_fp8_fp8 v[132:135], a[46:47], v[94:95], v[132:135]// 0000000245D4: D3F30084 0E12BD2E
	v_mfma_f32_16x16x32_fp8_fp8 v[136:139], a[48:49], v[88:89], 0// 0000000245DC: D3F30088 0A02B130
	v_mfma_f32_16x16x32_fp8_fp8 v[136:139], a[50:51], v[90:91], v[136:139]// 0000000245E4: D3F30088 0E22B532
	v_mfma_f32_16x16x32_fp8_fp8 v[136:139], a[52:53], v[92:93], v[136:139]// 0000000245EC: D3F30088 0E22B934
	v_mfma_f32_16x16x32_fp8_fp8 v[136:139], a[54:55], v[94:95], v[136:139]// 0000000245F4: D3F30088 0E22BD36
	v_mfma_f32_16x16x32_fp8_fp8 v[140:143], a[56:57], v[88:89], 0// 0000000245FC: D3F3008C 0A02B138
	v_mfma_f32_16x16x32_fp8_fp8 v[140:143], a[58:59], v[90:91], v[140:143]// 000000024604: D3F3008C 0E32B53A
	v_mfma_f32_16x16x32_fp8_fp8 v[140:143], a[60:61], v[92:93], v[140:143]// 00000002460C: D3F3008C 0E32B93C
	v_mfma_f32_16x16x32_fp8_fp8 v[140:143], a[62:63], v[94:95], v[140:143]// 000000024614: D3F3008C 0E32BD3E
	v_mfma_f32_16x16x32_fp8_fp8 v[144:147], a[32:33], v[96:97], 0// 00000002461C: D3F30090 0A02C120
	v_mfma_f32_16x16x32_fp8_fp8 v[144:147], a[34:35], v[98:99], v[144:147]// 000000024624: D3F30090 0E42C522
	v_mfma_f32_16x16x32_fp8_fp8 v[144:147], a[36:37], v[100:101], v[144:147]// 00000002462C: D3F30090 0E42C924
	v_mfma_f32_16x16x32_fp8_fp8 v[144:147], a[38:39], v[102:103], v[144:147]// 000000024634: D3F30090 0E42CD26
	v_mfma_f32_16x16x32_fp8_fp8 v[148:151], a[40:41], v[96:97], 0// 00000002463C: D3F30094 0A02C128
	v_mfma_f32_16x16x32_fp8_fp8 v[148:151], a[42:43], v[98:99], v[148:151]// 000000024644: D3F30094 0E52C52A
	v_mfma_f32_16x16x32_fp8_fp8 v[148:151], a[44:45], v[100:101], v[148:151]// 00000002464C: D3F30094 0E52C92C
	v_mfma_f32_16x16x32_fp8_fp8 v[148:151], a[46:47], v[102:103], v[148:151]// 000000024654: D3F30094 0E52CD2E
	v_mfma_f32_16x16x32_fp8_fp8 v[152:155], a[48:49], v[96:97], 0// 00000002465C: D3F30098 0A02C130
	v_mfma_f32_16x16x32_fp8_fp8 v[152:155], a[50:51], v[98:99], v[152:155]// 000000024664: D3F30098 0E62C532
	v_mfma_f32_16x16x32_fp8_fp8 v[152:155], a[52:53], v[100:101], v[152:155]// 00000002466C: D3F30098 0E62C934
	v_mfma_f32_16x16x32_fp8_fp8 v[152:155], a[54:55], v[102:103], v[152:155]// 000000024674: D3F30098 0E62CD36
	v_mfma_f32_16x16x32_fp8_fp8 v[156:159], a[56:57], v[96:97], 0// 00000002467C: D3F3009C 0A02C138
	v_mfma_f32_16x16x32_fp8_fp8 v[156:159], a[58:59], v[98:99], v[156:159]// 000000024684: D3F3009C 0E72C53A
	v_mfma_f32_16x16x32_fp8_fp8 v[156:159], a[60:61], v[100:101], v[156:159]// 00000002468C: D3F3009C 0E72C93C
	v_mfma_f32_16x16x32_fp8_fp8 v[156:159], a[62:63], v[102:103], v[156:159]// 000000024694: D3F3009C 0E72CD3E
	v_mfma_f32_16x16x32_fp8_fp8 v[160:163], a[32:33], v[104:105], 0// 00000002469C: D3F300A0 0A02D120
	v_mfma_f32_16x16x32_fp8_fp8 v[160:163], a[34:35], v[106:107], v[160:163]// 0000000246A4: D3F300A0 0E82D522
	v_mfma_f32_16x16x32_fp8_fp8 v[160:163], a[36:37], v[108:109], v[160:163]// 0000000246AC: D3F300A0 0E82D924
	v_mfma_f32_16x16x32_fp8_fp8 v[160:163], a[38:39], v[110:111], v[160:163]// 0000000246B4: D3F300A0 0E82DD26
	v_mfma_f32_16x16x32_fp8_fp8 v[164:167], a[40:41], v[104:105], 0// 0000000246BC: D3F300A4 0A02D128
	v_mfma_f32_16x16x32_fp8_fp8 v[164:167], a[42:43], v[106:107], v[164:167]// 0000000246C4: D3F300A4 0E92D52A
	v_mfma_f32_16x16x32_fp8_fp8 v[164:167], a[44:45], v[108:109], v[164:167]// 0000000246CC: D3F300A4 0E92D92C
	v_mfma_f32_16x16x32_fp8_fp8 v[164:167], a[46:47], v[110:111], v[164:167]// 0000000246D4: D3F300A4 0E92DD2E
	v_mfma_f32_16x16x32_fp8_fp8 v[168:171], a[48:49], v[104:105], 0// 0000000246DC: D3F300A8 0A02D130
	v_mfma_f32_16x16x32_fp8_fp8 v[168:171], a[50:51], v[106:107], v[168:171]// 0000000246E4: D3F300A8 0EA2D532
	v_mfma_f32_16x16x32_fp8_fp8 v[168:171], a[52:53], v[108:109], v[168:171]// 0000000246EC: D3F300A8 0EA2D934
	v_mfma_f32_16x16x32_fp8_fp8 v[168:171], a[54:55], v[110:111], v[168:171]// 0000000246F4: D3F300A8 0EA2DD36
	v_mfma_f32_16x16x32_fp8_fp8 v[172:175], a[56:57], v[104:105], 0// 0000000246FC: D3F300AC 0A02D138
	v_mfma_f32_16x16x32_fp8_fp8 v[172:175], a[58:59], v[106:107], v[172:175]// 000000024704: D3F300AC 0EB2D53A
	v_mfma_f32_16x16x32_fp8_fp8 v[172:175], a[60:61], v[108:109], v[172:175]// 00000002470C: D3F300AC 0EB2D93C
	v_mfma_f32_16x16x32_fp8_fp8 v[172:175], a[62:63], v[110:111], v[172:175]// 000000024714: D3F300AC 0EB2DD3E
	v_mov_b32_dpp v64, v43 row_shr:4 row_mask:0xf bank_mask:0xf// 00000002471C: 7E8002FA FF01142B
	v_mov_b32_dpp v65, v43 row_shl:4 row_mask:0xf bank_mask:0xf// 000000024724: 7E8202FA FF01042B
	v_cndmask_b32_e64 v248, v43, v64, s[44:45]                 // 00000002472C: D10000F8 00B2812B
	v_cndmask_b32_e64 v249, v65, v43, s[44:45]                 // 000000024734: D10000F9 00B25741
	v_mov_b32_dpp v64, v248 row_shr:8 row_mask:0xf bank_mask:0xf// 00000002473C: 7E8002FA FF0118F8
	v_mov_b32_dpp v65, v248 row_shl:8 row_mask:0xf bank_mask:0xf// 000000024744: 7E8202FA FF0108F8
	v_mov_b32_dpp v66, v249 row_shr:8 row_mask:0xf bank_mask:0xf// 00000002474C: 7E8402FA FF0118F9
	v_mov_b32_dpp v67, v249 row_shl:8 row_mask:0xf bank_mask:0xf// 000000024754: 7E8602FA FF0108F9
	v_mov_b32_e32 v68, v248                                    // 00000002475C: 7E8803F8
	v_mov_b32_e32 v69, v249                                    // 000000024760: 7E8A03F9
	v_cndmask_b32_e64 v248, v68, v64, s[42:43]                 // 000000024764: D10000F8 00AA8144
	v_cndmask_b32_e64 v250, v68, v65, s[78:79]                 // 00000002476C: D10000FA 013A8344
	v_cndmask_b32_e64 v249, v69, v66, s[42:43]                 // 000000024774: D10000F9 00AA8545
	v_cndmask_b32_e64 v251, v69, v67, s[78:79]                 // 00000002477C: D10000FB 013A8745
	v_mov_b32_dpp v64, v58 row_shr:4 row_mask:0xf bank_mask:0xf// 000000024784: 7E8002FA FF01143A
	v_mov_b32_dpp v65, v58 row_shl:4 row_mask:0xf bank_mask:0xf// 00000002478C: 7E8202FA FF01043A
	v_cndmask_b32_e64 v252, v58, v64, s[44:45]                 // 000000024794: D10000FC 00B2813A
	v_cndmask_b32_e64 v253, v65, v58, s[44:45]                 // 00000002479C: D10000FD 00B27541
	v_mov_b32_dpp v64, v252 row_shr:8 row_mask:0xf bank_mask:0xf// 0000000247A4: 7E8002FA FF0118FC
	v_mov_b32_dpp v65, v252 row_shl:8 row_mask:0xf bank_mask:0xf// 0000000247AC: 7E8202FA FF0108FC
	v_mov_b32_dpp v66, v253 row_shr:8 row_mask:0xf bank_mask:0xf// 0000000247B4: 7E8402FA FF0118FD
	v_mov_b32_dpp v67, v253 row_shl:8 row_mask:0xf bank_mask:0xf// 0000000247BC: 7E8602FA FF0108FD
	v_mov_b32_e32 v68, v252                                    // 0000000247C4: 7E8803FC
	v_mov_b32_e32 v69, v253                                    // 0000000247C8: 7E8A03FD
	v_cndmask_b32_e64 v252, v68, v64, s[42:43]                 // 0000000247CC: D10000FC 00AA8144
	v_cndmask_b32_e64 v254, v68, v65, s[78:79]                 // 0000000247D4: D10000FE 013A8344
	v_cndmask_b32_e64 v253, v69, v66, s[42:43]                 // 0000000247DC: D10000FD 00AA8545
	v_cndmask_b32_e64 v255, v69, v67, s[78:79]                 // 0000000247E4: D10000FF 013A8745
	v_mul_f32_e32 v112, v18, v112                              // 0000000247EC: 0AE0E112
	v_mul_f32_e32 v113, v18, v113                              // 0000000247F0: 0AE2E312
	v_mul_f32_e32 v114, v18, v114                              // 0000000247F4: 0AE4E512
	v_mul_f32_e32 v115, v18, v115                              // 0000000247F8: 0AE6E712
	v_mul_f32_e32 v116, v18, v116                              // 0000000247FC: 0AE8E912
	v_mul_f32_e32 v117, v18, v117                              // 000000024800: 0AEAEB12
	v_mul_f32_e32 v118, v18, v118                              // 000000024804: 0AECED12
	v_mul_f32_e32 v119, v18, v119                              // 000000024808: 0AEEEF12
	v_mul_f32_e32 v120, v18, v120                              // 00000002480C: 0AF0F112
	v_mul_f32_e32 v121, v18, v121                              // 000000024810: 0AF2F312
	v_mul_f32_e32 v122, v18, v122                              // 000000024814: 0AF4F512
	v_mul_f32_e32 v123, v18, v123                              // 000000024818: 0AF6F712
	v_mul_f32_e32 v124, v18, v124                              // 00000002481C: 0AF8F912
	v_mul_f32_e32 v125, v18, v125                              // 000000024820: 0AFAFB12
	v_mul_f32_e32 v126, v18, v126                              // 000000024824: 0AFCFD12
	v_mul_f32_e32 v127, v18, v127                              // 000000024828: 0AFEFF12
	v_mul_f32_dpp v112, v248, v112 quad_perm:[0,0,0,0] row_mask:0xf bank_mask:0xf// 00000002482C: 0AE0E0FA FF0000F8
	v_mul_f32_dpp v113, v248, v113 quad_perm:[1,1,1,1] row_mask:0xf bank_mask:0xf// 000000024834: 0AE2E2FA FF0055F8
	v_mul_f32_dpp v114, v248, v114 quad_perm:[2,2,2,2] row_mask:0xf bank_mask:0xf// 00000002483C: 0AE4E4FA FF00AAF8
	v_mul_f32_dpp v115, v248, v115 quad_perm:[3,3,3,3] row_mask:0xf bank_mask:0xf// 000000024844: 0AE6E6FA FF00FFF8
	v_mul_f32_dpp v116, v249, v116 quad_perm:[0,0,0,0] row_mask:0xf bank_mask:0xf// 00000002484C: 0AE8E8FA FF0000F9
	v_mul_f32_dpp v117, v249, v117 quad_perm:[1,1,1,1] row_mask:0xf bank_mask:0xf// 000000024854: 0AEAEAFA FF0055F9
	v_mul_f32_dpp v118, v249, v118 quad_perm:[2,2,2,2] row_mask:0xf bank_mask:0xf// 00000002485C: 0AECECFA FF00AAF9
	v_mul_f32_dpp v119, v249, v119 quad_perm:[3,3,3,3] row_mask:0xf bank_mask:0xf// 000000024864: 0AEEEEFA FF00FFF9
	v_mul_f32_dpp v120, v250, v120 quad_perm:[0,0,0,0] row_mask:0xf bank_mask:0xf// 00000002486C: 0AF0F0FA FF0000FA
	v_mul_f32_dpp v121, v250, v121 quad_perm:[1,1,1,1] row_mask:0xf bank_mask:0xf// 000000024874: 0AF2F2FA FF0055FA
	v_mul_f32_dpp v122, v250, v122 quad_perm:[2,2,2,2] row_mask:0xf bank_mask:0xf// 00000002487C: 0AF4F4FA FF00AAFA
	v_mul_f32_dpp v123, v250, v123 quad_perm:[3,3,3,3] row_mask:0xf bank_mask:0xf// 000000024884: 0AF6F6FA FF00FFFA
	v_mul_f32_dpp v124, v251, v124 quad_perm:[0,0,0,0] row_mask:0xf bank_mask:0xf// 00000002488C: 0AF8F8FA FF0000FB
	v_mul_f32_dpp v125, v251, v125 quad_perm:[1,1,1,1] row_mask:0xf bank_mask:0xf// 000000024894: 0AFAFAFA FF0055FB
	v_mul_f32_dpp v126, v251, v126 quad_perm:[2,2,2,2] row_mask:0xf bank_mask:0xf// 00000002489C: 0AFCFCFA FF00AAFB
	v_mul_f32_dpp v127, v251, v127 quad_perm:[3,3,3,3] row_mask:0xf bank_mask:0xf// 0000000248A4: 0AFEFEFA FF00FFFB
	s_and_b32 s60, s72, 0xff                                   // 0000000248AC: 863CFF48 000000FF
	v_mov_b32_e32 v65, s60                                     // 0000000248B4: 7E82023C
	v_lshrrev_b32_e32 v240, 4, v0                              // 0000000248B8: 21E00084
	v_mul_i32_i24_e32 v240, 4, v240                            // 0000000248BC: 0DE1E084
	s_mul_i32 s60, s7, 16                                      // 0000000248C0: 923C9007
	v_add_u32_e32 v240, s60, v240                              // 0000000248C4: 69E1E03C
	v_add_u32_e32 v241, 1, v240                                // 0000000248C8: 69E3E081
	v_add_u32_e32 v242, 2, v240                                // 0000000248CC: 69E5E082
	v_add_u32_e32 v243, 3, v240                                // 0000000248D0: 69E7E083
	v_mov_b32_e32 v64, 0xff800000                              // 0000000248D4: 7E8002FF FF800000
	v_cmp_lt_u32_e64 s[40:41], v240, v65                       // 0000000248DC: D0C90028 000283F0
	v_add_u32_e32 v240, 64, v240                               // 0000000248E4: 69E1E0C0
	s_nop 0                                                    // 0000000248E8: BF800000
	v_cndmask_b32_e64 v112, v64, v112, s[40:41]                // 0000000248EC: D1000070 00A2E140
	v_cmp_lt_u32_e64 s[40:41], v241, v65                       // 0000000248F4: D0C90028 000283F1
	v_add_u32_e32 v241, 64, v241                               // 0000000248FC: 69E3E2C0
	s_nop 0                                                    // 000000024900: BF800000
	v_cndmask_b32_e64 v113, v64, v113, s[40:41]                // 000000024904: D1000071 00A2E340
	v_cmp_lt_u32_e64 s[40:41], v242, v65                       // 00000002490C: D0C90028 000283F2
	v_add_u32_e32 v242, 64, v242                               // 000000024914: 69E5E4C0
	s_nop 0                                                    // 000000024918: BF800000
	v_cndmask_b32_e64 v114, v64, v114, s[40:41]                // 00000002491C: D1000072 00A2E540
	v_cmp_lt_u32_e64 s[40:41], v243, v65                       // 000000024924: D0C90028 000283F3
	v_add_u32_e32 v243, 64, v243                               // 00000002492C: 69E7E6C0
	s_nop 0                                                    // 000000024930: BF800000
	v_cndmask_b32_e64 v115, v64, v115, s[40:41]                // 000000024934: D1000073 00A2E740
	v_cmp_lt_u32_e64 s[40:41], v240, v65                       // 00000002493C: D0C90028 000283F0
	v_add_u32_e32 v240, 64, v240                               // 000000024944: 69E1E0C0
	s_nop 0                                                    // 000000024948: BF800000
	v_cndmask_b32_e64 v116, v64, v116, s[40:41]                // 00000002494C: D1000074 00A2E940
	v_cmp_lt_u32_e64 s[40:41], v241, v65                       // 000000024954: D0C90028 000283F1
	v_add_u32_e32 v241, 64, v241                               // 00000002495C: 69E3E2C0
	s_nop 0                                                    // 000000024960: BF800000
	v_cndmask_b32_e64 v117, v64, v117, s[40:41]                // 000000024964: D1000075 00A2EB40
	v_cmp_lt_u32_e64 s[40:41], v242, v65                       // 00000002496C: D0C90028 000283F2
	v_add_u32_e32 v242, 64, v242                               // 000000024974: 69E5E4C0
	s_nop 0                                                    // 000000024978: BF800000
	v_cndmask_b32_e64 v118, v64, v118, s[40:41]                // 00000002497C: D1000076 00A2ED40
	v_cmp_lt_u32_e64 s[40:41], v243, v65                       // 000000024984: D0C90028 000283F3
	v_add_u32_e32 v243, 64, v243                               // 00000002498C: 69E7E6C0
	s_nop 0                                                    // 000000024990: BF800000
	v_cndmask_b32_e64 v119, v64, v119, s[40:41]                // 000000024994: D1000077 00A2EF40
	v_cmp_lt_u32_e64 s[40:41], v240, v65                       // 00000002499C: D0C90028 000283F0
	v_add_u32_e32 v240, 64, v240                               // 0000000249A4: 69E1E0C0
	s_nop 0                                                    // 0000000249A8: BF800000
	v_cndmask_b32_e64 v120, v64, v120, s[40:41]                // 0000000249AC: D1000078 00A2F140
	v_cmp_lt_u32_e64 s[40:41], v241, v65                       // 0000000249B4: D0C90028 000283F1
	v_add_u32_e32 v241, 64, v241                               // 0000000249BC: 69E3E2C0
	s_nop 0                                                    // 0000000249C0: BF800000
	v_cndmask_b32_e64 v121, v64, v121, s[40:41]                // 0000000249C4: D1000079 00A2F340
	v_cmp_lt_u32_e64 s[40:41], v242, v65                       // 0000000249CC: D0C90028 000283F2
	v_add_u32_e32 v242, 64, v242                               // 0000000249D4: 69E5E4C0
	s_nop 0                                                    // 0000000249D8: BF800000
	v_cndmask_b32_e64 v122, v64, v122, s[40:41]                // 0000000249DC: D100007A 00A2F540
	v_cmp_lt_u32_e64 s[40:41], v243, v65                       // 0000000249E4: D0C90028 000283F3
	v_add_u32_e32 v243, 64, v243                               // 0000000249EC: 69E7E6C0
	s_nop 0                                                    // 0000000249F0: BF800000
	v_cndmask_b32_e64 v123, v64, v123, s[40:41]                // 0000000249F4: D100007B 00A2F740
	v_cmp_lt_u32_e64 s[40:41], v240, v65                       // 0000000249FC: D0C90028 000283F0
	v_add_u32_e32 v240, 64, v240                               // 000000024A04: 69E1E0C0
	s_nop 0                                                    // 000000024A08: BF800000
	v_cndmask_b32_e64 v124, v64, v124, s[40:41]                // 000000024A0C: D100007C 00A2F940
	v_cmp_lt_u32_e64 s[40:41], v241, v65                       // 000000024A14: D0C90028 000283F1
	v_add_u32_e32 v241, 64, v241                               // 000000024A1C: 69E3E2C0
	s_nop 0                                                    // 000000024A20: BF800000
	v_cndmask_b32_e64 v125, v64, v125, s[40:41]                // 000000024A24: D100007D 00A2FB40
	v_cmp_lt_u32_e64 s[40:41], v242, v65                       // 000000024A2C: D0C90028 000283F2
	v_add_u32_e32 v242, 64, v242                               // 000000024A34: 69E5E4C0
	s_nop 0                                                    // 000000024A38: BF800000
	v_cndmask_b32_e64 v126, v64, v126, s[40:41]                // 000000024A3C: D100007E 00A2FD40
	v_cmp_lt_u32_e64 s[40:41], v243, v65                       // 000000024A44: D0C90028 000283F3
	v_add_u32_e32 v243, 64, v243                               // 000000024A4C: 69E7E6C0
	s_nop 0                                                    // 000000024A50: BF800000
	v_cndmask_b32_e64 v127, v64, v127, s[40:41]                // 000000024A54: D100007F 00A2FF40
	v_mov_b32_e32 v48, v112                                    // 000000024A5C: 7E600370
	v_max3_f32 v48, v112, v113, v48                            // 000000024A60: D1D30030 04C2E370
	v_max3_f32 v48, v114, v115, v48                            // 000000024A68: D1D30030 04C2E772
	v_max3_f32 v48, v116, v117, v48                            // 000000024A70: D1D30030 04C2EB74
	v_max3_f32 v48, v118, v119, v48                            // 000000024A78: D1D30030 04C2EF76
	v_max3_f32 v48, v120, v121, v48                            // 000000024A80: D1D30030 04C2F378
	v_max3_f32 v48, v122, v123, v48                            // 000000024A88: D1D30030 04C2F77A
	v_max3_f32 v48, v124, v125, v48                            // 000000024A90: D1D30030 04C2FB7C
	v_max3_f32 v48, v126, v127, v48                            // 000000024A98: D1D30030 04C2FF7E
	ds_write_b32 v8, v48 offset:16896                          // 000000024AA0: D81A4200 00003008
	v_mul_u32_u24_dpp v64, v16, v54 row_newbcast:1 row_mask:0xf bank_mask:0xf// 000000024AA8: 10806CFA FF015110
	v_mul_u32_u24_dpp v65, v16, v54 row_newbcast:5 row_mask:0xf bank_mask:0xf// 000000024AB0: 10826CFA FF015510
	v_mul_u32_u24_dpp v66, v16, v54 row_newbcast:9 row_mask:0xf bank_mask:0xf// 000000024AB8: 10846CFA FF015910
	v_mul_u32_u24_dpp v67, v16, v54 row_newbcast:13 row_mask:0xf bank_mask:0xf// 000000024AC0: 10866CFA FF015D10
	v_add_u32_e32 v30, v64, v6                                 // 000000024AC8: 683C0D40
	v_add_u32_e32 v31, v65, v6                                 // 000000024ACC: 683E0D41
	v_add_u32_e32 v32, v66, v6                                 // 000000024AD0: 68400D42
	v_add_u32_e32 v33, v67, v6                                 // 000000024AD4: 68420D43
	v_mul_f32_e32 v208, v49, v208                              // 000000024AD8: 0BA1A131
	v_mul_f32_e32 v209, v49, v209                              // 000000024ADC: 0BA3A331
	v_mul_f32_e32 v210, v49, v210                              // 000000024AE0: 0BA5A531
	v_mul_f32_e32 v211, v49, v211                              // 000000024AE4: 0BA7A731
	v_mul_f32_e32 v212, v49, v212                              // 000000024AE8: 0BA9A931
	v_mul_f32_e32 v213, v49, v213                              // 000000024AEC: 0BABAB31
	v_mul_f32_e32 v214, v49, v214                              // 000000024AF0: 0BADAD31
	v_mul_f32_e32 v215, v49, v215                              // 000000024AF4: 0BAFAF31
	s_waitcnt lgkmcnt(0)                                       // 000000024AF8: BF8CC07F
	s_barrier                                                  // 000000024AFC: BF8A0000
	ds_read_b32 v64, v7 offset:16896                           // 000000024B00: D86C4200 40000007
	ds_read_b32 v65, v7 offset:16960                           // 000000024B08: D86C4240 41000007
	ds_read_b32 v66, v7 offset:17024                           // 000000024B10: D86C4280 42000007
	ds_read_b32 v67, v7 offset:17088                           // 000000024B18: D86C42C0 43000007
	ds_read_b32 v68, v7 offset:17152                           // 000000024B20: D86C4300 44000007
	ds_read_b32 v69, v7 offset:17216                           // 000000024B28: D86C4340 45000007
	ds_read_b32 v70, v7 offset:17280                           // 000000024B30: D86C4380 46000007
	ds_read_b32 v71, v7 offset:17344                           // 000000024B38: D86C43C0 47000007
	ds_read_b32 v72, v7 offset:17408                           // 000000024B40: D86C4400 48000007
	ds_read_b32 v73, v7 offset:17472                           // 000000024B48: D86C4440 49000007
	ds_read_b32 v74, v7 offset:17536                           // 000000024B50: D86C4480 4A000007
	ds_read_b32 v75, v7 offset:17600                           // 000000024B58: D86C44C0 4B000007
	ds_read_b32 v76, v7 offset:17664                           // 000000024B60: D86C4500 4C000007
	ds_read_b32 v77, v7 offset:17728                           // 000000024B68: D86C4540 4D000007
	ds_read_b32 v78, v7 offset:17792                           // 000000024B70: D86C4580 4E000007
	ds_read_b32 v79, v7 offset:17856                           // 000000024B78: D86C45C0 4F000007
	v_mul_f32_e32 v176, v44, v176                              // 000000024B80: 0B61612C
	v_mul_f32_e32 v177, v44, v177                              // 000000024B84: 0B63632C
	v_mul_f32_e32 v178, v44, v178                              // 000000024B88: 0B65652C
	v_mul_f32_e32 v179, v44, v179                              // 000000024B8C: 0B67672C
	v_mul_f32_e32 v180, v44, v180                              // 000000024B90: 0B69692C
	v_mul_f32_e32 v181, v44, v181                              // 000000024B94: 0B6B6B2C
	v_mul_f32_e32 v182, v44, v182                              // 000000024B98: 0B6D6D2C
	v_mul_f32_e32 v183, v44, v183                              // 000000024B9C: 0B6F6F2C
	s_waitcnt lgkmcnt(0)                                       // 000000024BA0: BF8CC07F
	v_max3_f32 v48, v64, v65, v48                              // 000000024BA4: D1D30030 04C28340
	v_max3_f32 v48, v66, v67, v48                              // 000000024BAC: D1D30030 04C28742
	v_max3_f32 v48, v68, v69, v48                              // 000000024BB4: D1D30030 04C28B44
	v_max3_f32 v48, v70, v71, v48                              // 000000024BBC: D1D30030 04C28F46
	v_max3_f32 v48, v72, v73, v48                              // 000000024BC4: D1D30030 04C29348
	v_max3_f32 v48, v74, v75, v48                              // 000000024BCC: D1D30030 04C2974A
	v_max3_f32 v48, v76, v77, v48                              // 000000024BD4: D1D30030 04C29B4C
	v_max3_f32 v48, v78, v79, v48                              // 000000024BDC: D1D30030 04C29F4E
	v_mov_b32_e32 v64, 0xff800000                              // 000000024BE4: 7E8002FF FF800000
	v_cmp_eq_u32_e64 s[40:41], v64, v11                        // 000000024BEC: D0CA0028 00021740
	s_nop 1                                                    // 000000024BF4: BF800001
	v_max_f32_e32 v15, v48, v11                                // 000000024BF8: 161E1730
	v_mul_f32_e32 v53, s64, v15                                // 000000024BFC: 0A6A1E40
	v_fma_f32 v112, v112, s64, -v53                            // 000000024C00: D1CB0070 84D48170
	v_fma_f32 v113, v113, s64, -v53                            // 000000024C08: D1CB0071 84D48171
	v_fma_f32 v114, v114, s64, -v53                            // 000000024C10: D1CB0072 84D48172
	v_fma_f32 v115, v115, s64, -v53                            // 000000024C18: D1CB0073 84D48173
	v_fma_f32 v116, v116, s64, -v53                            // 000000024C20: D1CB0074 84D48174
	v_fma_f32 v117, v117, s64, -v53                            // 000000024C28: D1CB0075 84D48175
	v_fma_f32 v118, v118, s64, -v53                            // 000000024C30: D1CB0076 84D48176
	v_fma_f32 v119, v119, s64, -v53                            // 000000024C38: D1CB0077 84D48177
	v_fma_f32 v120, v120, s64, -v53                            // 000000024C40: D1CB0078 84D48178
	v_fma_f32 v121, v121, s64, -v53                            // 000000024C48: D1CB0079 84D48179
	v_fma_f32 v122, v122, s64, -v53                            // 000000024C50: D1CB007A 84D4817A
	v_fma_f32 v123, v123, s64, -v53                            // 000000024C58: D1CB007B 84D4817B
	v_fma_f32 v124, v124, s64, -v53                            // 000000024C60: D1CB007C 84D4817C
	v_fma_f32 v125, v125, s64, -v53                            // 000000024C68: D1CB007D 84D4817D
	v_fma_f32 v126, v126, s64, -v53                            // 000000024C70: D1CB007E 84D4817E
	v_fma_f32 v127, v127, s64, -v53                            // 000000024C78: D1CB007F 84D4817F
	v_exp_f32_e32 v112, v112                                   // 000000024C80: 7EE04170
	v_exp_f32_e32 v113, v113                                   // 000000024C84: 7EE24171
	v_exp_f32_e32 v114, v114                                   // 000000024C88: 7EE44172
	v_exp_f32_e32 v115, v115                                   // 000000024C8C: 7EE64173
	v_exp_f32_e32 v116, v116                                   // 000000024C90: 7EE84174
	v_exp_f32_e32 v117, v117                                   // 000000024C94: 7EEA4175
	v_exp_f32_e32 v118, v118                                   // 000000024C98: 7EEC4176
	v_exp_f32_e32 v119, v119                                   // 000000024C9C: 7EEE4177
	v_exp_f32_e32 v120, v120                                   // 000000024CA0: 7EF04178
	v_exp_f32_e32 v121, v121                                   // 000000024CA4: 7EF24179
	v_exp_f32_e32 v122, v122                                   // 000000024CA8: 7EF4417A
	v_exp_f32_e32 v123, v123                                   // 000000024CAC: 7EF6417B
	v_exp_f32_e32 v124, v124                                   // 000000024CB0: 7EF8417C
	v_exp_f32_e32 v125, v125                                   // 000000024CB4: 7EFA417D
	v_exp_f32_e32 v126, v126                                   // 000000024CB8: 7EFC417E
	v_exp_f32_e32 v127, v127                                   // 000000024CBC: 7EFE417F
	v_mul_f32_dpp v240, v252, v112 quad_perm:[0,0,0,0] row_mask:0xf bank_mask:0xf// 000000024CC0: 0BE0E0FA FF0000FC
	v_mul_f32_dpp v241, v252, v113 quad_perm:[1,1,1,1] row_mask:0xf bank_mask:0xf// 000000024CC8: 0BE2E2FA FF0055FC
	v_mul_f32_dpp v242, v252, v114 quad_perm:[2,2,2,2] row_mask:0xf bank_mask:0xf// 000000024CD0: 0BE4E4FA FF00AAFC
	v_mul_f32_dpp v243, v252, v115 quad_perm:[3,3,3,3] row_mask:0xf bank_mask:0xf// 000000024CD8: 0BE6E6FA FF00FFFC
	v_mul_f32_dpp v244, v253, v116 quad_perm:[0,0,0,0] row_mask:0xf bank_mask:0xf// 000000024CE0: 0BE8E8FA FF0000FD
	v_mul_f32_dpp v245, v253, v117 quad_perm:[1,1,1,1] row_mask:0xf bank_mask:0xf// 000000024CE8: 0BEAEAFA FF0055FD
	v_mul_f32_dpp v246, v253, v118 quad_perm:[2,2,2,2] row_mask:0xf bank_mask:0xf// 000000024CF0: 0BECECFA FF00AAFD
	v_mul_f32_dpp v247, v253, v119 quad_perm:[3,3,3,3] row_mask:0xf bank_mask:0xf// 000000024CF8: 0BEEEEFA FF00FFFD
	v_mul_f32_dpp v248, v254, v120 quad_perm:[0,0,0,0] row_mask:0xf bank_mask:0xf// 000000024D00: 0BF0F0FA FF0000FE
	v_mul_f32_dpp v249, v254, v121 quad_perm:[1,1,1,1] row_mask:0xf bank_mask:0xf// 000000024D08: 0BF2F2FA FF0055FE
	v_mul_f32_dpp v250, v254, v122 quad_perm:[2,2,2,2] row_mask:0xf bank_mask:0xf// 000000024D10: 0BF4F4FA FF00AAFE
	v_mul_f32_dpp v251, v254, v123 quad_perm:[3,3,3,3] row_mask:0xf bank_mask:0xf// 000000024D18: 0BF6F6FA FF00FFFE
	v_mul_f32_dpp v252, v255, v124 quad_perm:[0,0,0,0] row_mask:0xf bank_mask:0xf// 000000024D20: 0BF8F8FA FF0000FF
	v_mul_f32_dpp v253, v255, v125 quad_perm:[1,1,1,1] row_mask:0xf bank_mask:0xf// 000000024D28: 0BFAFAFA FF0055FF
	v_mul_f32_dpp v254, v255, v126 quad_perm:[2,2,2,2] row_mask:0xf bank_mask:0xf// 000000024D30: 0BFCFCFA FF00AAFF
	v_mul_f32_dpp v255, v255, v127 quad_perm:[3,3,3,3] row_mask:0xf bank_mask:0xf// 000000024D38: 0BFEFEFA FF00FFFF
	v_mov_b32_e32 v48, 0x358637bd                              // 000000024D40: 7E6002FF 358637BD
	v_max3_f32 v48, |v240|, |v241|, v48                        // 000000024D48: D1D30330 04C3E3F0
	v_max3_f32 v48, |v242|, |v243|, v48                        // 000000024D50: D1D30330 04C3E7F2
	v_max3_f32 v48, |v244|, |v245|, v48                        // 000000024D58: D1D30330 04C3EBF4
	v_max3_f32 v48, |v246|, |v247|, v48                        // 000000024D60: D1D30330 04C3EFF6
	v_max3_f32 v48, |v248|, |v249|, v48                        // 000000024D68: D1D30330 04C3F3F8
	v_max3_f32 v48, |v250|, |v251|, v48                        // 000000024D70: D1D30330 04C3F7FA
	v_max3_f32 v48, |v252|, |v253|, v48                        // 000000024D78: D1D30330 04C3FBFC
	v_max3_f32 v48, |v254|, |v255|, v48                        // 000000024D80: D1D30330 04C3FFFE
	ds_write_b32 v8, v48 offset:20992                          // 000000024D88: D81A5200 00003008
	v_sub_f32_e32 v49, v11, v15                                // 000000024D90: 04621F0B
	v_cndmask_b32_e64 v49, v49, 0, s[40:41]                    // 000000024D94: D1000031 00A10131
	v_mov_b32_e32 v11, v15                                     // 000000024D9C: 7E16030F
	v_mul_f32_e32 v49, s64, v49                                // 000000024DA0: 0A626240
	v_exp_f32_e32 v49, v49                                     // 000000024DA4: 7E624131
	s_waitcnt lgkmcnt(0)                                       // 000000024DA8: BF8CC07F
	s_barrier                                                  // 000000024DAC: BF8A0000
	ds_read_b32 v64, v7 offset:20992                           // 000000024DB0: D86C5200 40000007
	ds_read_b32 v65, v7 offset:21056                           // 000000024DB8: D86C5240 41000007
	ds_read_b32 v66, v7 offset:21120                           // 000000024DC0: D86C5280 42000007
	ds_read_b32 v67, v7 offset:21184                           // 000000024DC8: D86C52C0 43000007
	ds_read_b32 v68, v7 offset:21248                           // 000000024DD0: D86C5300 44000007
	ds_read_b32 v69, v7 offset:21312                           // 000000024DD8: D86C5340 45000007
	ds_read_b32 v70, v7 offset:21376                           // 000000024DE0: D86C5380 46000007
	ds_read_b32 v71, v7 offset:21440                           // 000000024DE8: D86C53C0 47000007
	ds_read_b32 v72, v7 offset:21504                           // 000000024DF0: D86C5400 48000007
	ds_read_b32 v73, v7 offset:21568                           // 000000024DF8: D86C5440 49000007
	ds_read_b32 v74, v7 offset:21632                           // 000000024E00: D86C5480 4A000007
	ds_read_b32 v75, v7 offset:21696                           // 000000024E08: D86C54C0 4B000007
	ds_read_b32 v76, v7 offset:21760                           // 000000024E10: D86C5500 4C000007
	ds_read_b32 v77, v7 offset:21824                           // 000000024E18: D86C5540 4D000007
	ds_read_b32 v78, v7 offset:21888                           // 000000024E20: D86C5580 4E000007
	ds_read_b32 v79, v7 offset:21952                           // 000000024E28: D86C55C0 4F000007
	v_mul_f32_e32 v38, v49, v38                                // 000000024E30: 0A4C4D31
	v_mov_b32_e32 v15, v112                                    // 000000024E34: 7E1E0370
	v_add_f32_e32 v15, v113, v15                               // 000000024E38: 021E1F71
	v_add_f32_e32 v15, v114, v15                               // 000000024E3C: 021E1F72
	v_add_f32_e32 v15, v115, v15                               // 000000024E40: 021E1F73
	v_add_f32_e32 v15, v116, v15                               // 000000024E44: 021E1F74
	v_add_f32_e32 v15, v117, v15                               // 000000024E48: 021E1F75
	v_add_f32_e32 v15, v118, v15                               // 000000024E4C: 021E1F76
	v_add_f32_e32 v15, v119, v15                               // 000000024E50: 021E1F77
	v_add_f32_e32 v15, v120, v15                               // 000000024E54: 021E1F78
	v_add_f32_e32 v15, v121, v15                               // 000000024E58: 021E1F79
	v_add_f32_e32 v15, v122, v15                               // 000000024E5C: 021E1F7A
	v_add_f32_e32 v15, v123, v15                               // 000000024E60: 021E1F7B
	v_add_f32_e32 v15, v124, v15                               // 000000024E64: 021E1F7C
	v_add_f32_e32 v15, v125, v15                               // 000000024E68: 021E1F7D
	v_add_f32_e32 v15, v126, v15                               // 000000024E6C: 021E1F7E
	v_add_f32_e32 v15, v127, v15                               // 000000024E70: 021E1F7F
	v_add_f32_e32 v38, v15, v38                                // 000000024E74: 024C4D0F
	s_waitcnt lgkmcnt(0)                                       // 000000024E78: BF8CC07F
	v_max3_f32 v48, |v64|, |v65|, v48                          // 000000024E7C: D1D30330 04C28340
	v_max3_f32 v48, |v66|, |v67|, v48                          // 000000024E84: D1D30330 04C28742
	v_max3_f32 v48, |v68|, |v69|, v48                          // 000000024E8C: D1D30330 04C28B44
	v_max3_f32 v48, |v70|, |v71|, v48                          // 000000024E94: D1D30330 04C28F46
	v_max3_f32 v48, |v72|, |v73|, v48                          // 000000024E9C: D1D30330 04C29348
	v_max3_f32 v48, |v74|, |v75|, v48                          // 000000024EA4: D1D30330 04C2974A
	v_max3_f32 v48, |v76|, |v77|, v48                          // 000000024EAC: D1D30330 04C29B4C
	v_max3_f32 v48, |v78|, |v79|, v48                          // 000000024EB4: D1D30330 04C29F4E
	s_nop 2                                                    // 000000024EBC: BF800002
	v_rcp_f32_e32 v48, v48                                     // 000000024EC0: 7E604530
	s_nop 1                                                    // 000000024EC4: BF800001
	v_mul_f32_e32 v48, 0x43e00000, v48                         // 000000024EC8: 0A6060FF 43E00000
	v_mul_f32_e32 v112, v48, v240                              // 000000024ED0: 0AE1E130
	v_mul_f32_e32 v113, v48, v241                              // 000000024ED4: 0AE3E330
	v_mul_f32_e32 v114, v48, v242                              // 000000024ED8: 0AE5E530
	v_mul_f32_e32 v115, v48, v243                              // 000000024EDC: 0AE7E730
	v_mul_f32_e32 v116, v48, v244                              // 000000024EE0: 0AE9E930
	v_mul_f32_e32 v117, v48, v245                              // 000000024EE4: 0AEBEB30
	v_mul_f32_e32 v118, v48, v246                              // 000000024EE8: 0AEDED30
	v_mul_f32_e32 v119, v48, v247                              // 000000024EEC: 0AEFEF30
	v_mul_f32_e32 v120, v48, v248                              // 000000024EF0: 0AF1F130
	v_mul_f32_e32 v121, v48, v249                              // 000000024EF4: 0AF3F330
	v_mul_f32_e32 v122, v48, v250                              // 000000024EF8: 0AF5F530
	v_mul_f32_e32 v123, v48, v251                              // 000000024EFC: 0AF7F730
	v_mul_f32_e32 v124, v48, v252                              // 000000024F00: 0AF9F930
	v_mul_f32_e32 v125, v48, v253                              // 000000024F04: 0AFBFB30
	v_mul_f32_e32 v126, v48, v254                              // 000000024F08: 0AFDFD30
	v_mul_f32_e32 v127, v48, v255                              // 000000024F0C: 0AFFFF30
	v_cvt_pk_fp8_f32 v112, v112, v113                          // 000000024F10: D2A20070 0002E370
	v_cvt_pk_fp8_f32 v112, v114, v115 op_sel:[0,0,1]           // 000000024F18: D2A24070 0002E772
	v_cvt_pk_fp8_f32 v113, v116, v117                          // 000000024F20: D2A20071 0002EB74
	v_cvt_pk_fp8_f32 v113, v118, v119 op_sel:[0,0,1]           // 000000024F28: D2A24071 0002EF76
	v_cvt_pk_fp8_f32 v114, v120, v121                          // 000000024F30: D2A20072 0002F378
	v_cvt_pk_fp8_f32 v114, v122, v123 op_sel:[0,0,1]           // 000000024F38: D2A24072 0002F77A
	v_cvt_pk_fp8_f32 v115, v124, v125                          // 000000024F40: D2A20073 0002FB7C
	v_cvt_pk_fp8_f32 v115, v126, v127 op_sel:[0,0,1]           // 000000024F48: D2A24073 0002FF7E
	ds_write_b32 v10, v112 offset:25088                        // 000000024F50: D81A6200 0000700A
	ds_write_b32 v10, v113 offset:26112                        // 000000024F58: D81A6600 0000710A
	ds_write_b32 v10, v114 offset:27136                        // 000000024F60: D81A6A00 0000720A
	ds_write_b32 v10, v115 offset:28160                        // 000000024F68: D81A6E00 0000730A
	v_add_f32_e32 v208, v208, v176                             // 000000024F70: 03A161D0
	v_add_f32_e32 v209, v209, v177                             // 000000024F74: 03A363D1
	v_add_f32_e32 v210, v210, v178                             // 000000024F78: 03A565D2
	v_add_f32_e32 v211, v211, v179                             // 000000024F7C: 03A767D3
	v_add_f32_e32 v212, v212, v180                             // 000000024F80: 03A969D4
	v_add_f32_e32 v213, v213, v181                             // 000000024F84: 03AB6BD5
	v_add_f32_e32 v214, v214, v182                             // 000000024F88: 03AD6DD6
	v_add_f32_e32 v215, v215, v183                             // 000000024F8C: 03AF6FD7
	v_rcp_f32_e32 v44, v48                                     // 000000024F90: 7E584530
	s_waitcnt lgkmcnt(0)                                       // 000000024F94: BF8CC07F
	s_barrier                                                  // 000000024F98: BF8A0000
	ds_read_b64 v[112:113], v9 offset:25088                    // 000000024F9C: D8EC6200 70000009
	ds_read_b64 v[114:115], v9 offset:25216                    // 000000024FA4: D8EC6280 72000009
	ds_read_b64 v[116:117], v9 offset:26112                    // 000000024FAC: D8EC6600 74000009
	ds_read_b64 v[118:119], v9 offset:26240                    // 000000024FB4: D8EC6680 76000009
	ds_read_b64 v[120:121], v9 offset:27136                    // 000000024FBC: D8EC6A00 78000009
	ds_read_b64 v[122:123], v9 offset:27264                    // 000000024FC4: D8EC6A80 7A000009
	ds_read_b64 v[124:125], v9 offset:28160                    // 000000024FCC: D8EC6E00 7C000009
	ds_read_b64 v[126:127], v9 offset:28288                    // 000000024FD4: D8EC6E80 7E000009
	v_mov_b32_dpp v64, v43 row_shr:4 row_mask:0xf bank_mask:0xf// 000000024FDC: 7E8002FA FF01142B
	v_mov_b32_dpp v65, v43 row_shl:4 row_mask:0xf bank_mask:0xf// 000000024FE4: 7E8202FA FF01042B
	v_cndmask_b32_e64 v248, v43, v64, s[44:45]                 // 000000024FEC: D10000F8 00B2812B
	v_cndmask_b32_e64 v249, v65, v43, s[44:45]                 // 000000024FF4: D10000F9 00B25741
	v_mov_b32_dpp v64, v248 row_shr:8 row_mask:0xf bank_mask:0xf// 000000024FFC: 7E8002FA FF0118F8
	v_mov_b32_dpp v65, v248 row_shl:8 row_mask:0xf bank_mask:0xf// 000000025004: 7E8202FA FF0108F8
	v_mov_b32_dpp v66, v249 row_shr:8 row_mask:0xf bank_mask:0xf// 00000002500C: 7E8402FA FF0118F9
	v_mov_b32_dpp v67, v249 row_shl:8 row_mask:0xf bank_mask:0xf// 000000025014: 7E8602FA FF0108F9
	v_mov_b32_e32 v68, v248                                    // 00000002501C: 7E8803F8
	v_mov_b32_e32 v69, v249                                    // 000000025020: 7E8A03F9
	v_cndmask_b32_e64 v248, v68, v64, s[42:43]                 // 000000025024: D10000F8 00AA8144
	v_cndmask_b32_e64 v250, v68, v65, s[78:79]                 // 00000002502C: D10000FA 013A8344
	v_cndmask_b32_e64 v249, v69, v66, s[42:43]                 // 000000025034: D10000F9 00AA8545
	v_cndmask_b32_e64 v251, v69, v67, s[78:79]                 // 00000002503C: D10000FB 013A8745
	v_mov_b32_dpp v64, v58 row_shr:4 row_mask:0xf bank_mask:0xf// 000000025044: 7E8002FA FF01143A
	v_mov_b32_dpp v65, v58 row_shl:4 row_mask:0xf bank_mask:0xf// 00000002504C: 7E8202FA FF01043A
	v_cndmask_b32_e64 v252, v58, v64, s[44:45]                 // 000000025054: D10000FC 00B2813A
	v_cndmask_b32_e64 v253, v65, v58, s[44:45]                 // 00000002505C: D10000FD 00B27541
	v_mov_b32_dpp v64, v252 row_shr:8 row_mask:0xf bank_mask:0xf// 000000025064: 7E8002FA FF0118FC
	v_mov_b32_dpp v65, v252 row_shl:8 row_mask:0xf bank_mask:0xf// 00000002506C: 7E8202FA FF0108FC
	v_mov_b32_dpp v66, v253 row_shr:8 row_mask:0xf bank_mask:0xf// 000000025074: 7E8402FA FF0118FD
	v_mov_b32_dpp v67, v253 row_shl:8 row_mask:0xf bank_mask:0xf// 00000002507C: 7E8602FA FF0108FD
	v_mov_b32_e32 v68, v252                                    // 000000025084: 7E8803FC
	v_mov_b32_e32 v69, v253                                    // 000000025088: 7E8A03FD
	v_cndmask_b32_e64 v252, v68, v64, s[42:43]                 // 00000002508C: D10000FC 00AA8144
	v_cndmask_b32_e64 v254, v68, v65, s[78:79]                 // 000000025094: D10000FE 013A8344
	v_cndmask_b32_e64 v253, v69, v66, s[42:43]                 // 00000002509C: D10000FD 00AA8545
	v_cndmask_b32_e64 v255, v69, v67, s[78:79]                 // 0000000250A4: D10000FF 013A8745
	v_mul_f32_e32 v128, v19, v128                              // 0000000250AC: 0B010113
	v_mul_f32_e32 v129, v19, v129                              // 0000000250B0: 0B030313
	v_mul_f32_e32 v130, v19, v130                              // 0000000250B4: 0B050513
	v_mul_f32_e32 v131, v19, v131                              // 0000000250B8: 0B070713
	v_mul_f32_e32 v132, v19, v132                              // 0000000250BC: 0B090913
	v_mul_f32_e32 v133, v19, v133                              // 0000000250C0: 0B0B0B13
	v_mul_f32_e32 v134, v19, v134                              // 0000000250C4: 0B0D0D13
	v_mul_f32_e32 v135, v19, v135                              // 0000000250C8: 0B0F0F13
	v_mul_f32_e32 v136, v19, v136                              // 0000000250CC: 0B111113
	v_mul_f32_e32 v137, v19, v137                              // 0000000250D0: 0B131313
	v_mul_f32_e32 v138, v19, v138                              // 0000000250D4: 0B151513
	v_mul_f32_e32 v139, v19, v139                              // 0000000250D8: 0B171713
	v_mul_f32_e32 v140, v19, v140                              // 0000000250DC: 0B191913
	v_mul_f32_e32 v141, v19, v141                              // 0000000250E0: 0B1B1B13
	v_mul_f32_e32 v142, v19, v142                              // 0000000250E4: 0B1D1D13
	v_mul_f32_e32 v143, v19, v143                              // 0000000250E8: 0B1F1F13
	v_mul_f32_dpp v128, v248, v128 quad_perm:[0,0,0,0] row_mask:0xf bank_mask:0xf// 0000000250EC: 0B0100FA FF0000F8
	v_mul_f32_dpp v129, v248, v129 quad_perm:[1,1,1,1] row_mask:0xf bank_mask:0xf// 0000000250F4: 0B0302FA FF0055F8
	v_mul_f32_dpp v130, v248, v130 quad_perm:[2,2,2,2] row_mask:0xf bank_mask:0xf// 0000000250FC: 0B0504FA FF00AAF8
	v_mul_f32_dpp v131, v248, v131 quad_perm:[3,3,3,3] row_mask:0xf bank_mask:0xf// 000000025104: 0B0706FA FF00FFF8
	v_mul_f32_dpp v132, v249, v132 quad_perm:[0,0,0,0] row_mask:0xf bank_mask:0xf// 00000002510C: 0B0908FA FF0000F9
	v_mul_f32_dpp v133, v249, v133 quad_perm:[1,1,1,1] row_mask:0xf bank_mask:0xf// 000000025114: 0B0B0AFA FF0055F9
	v_mul_f32_dpp v134, v249, v134 quad_perm:[2,2,2,2] row_mask:0xf bank_mask:0xf// 00000002511C: 0B0D0CFA FF00AAF9
	v_mul_f32_dpp v135, v249, v135 quad_perm:[3,3,3,3] row_mask:0xf bank_mask:0xf// 000000025124: 0B0F0EFA FF00FFF9
	v_mul_f32_dpp v136, v250, v136 quad_perm:[0,0,0,0] row_mask:0xf bank_mask:0xf// 00000002512C: 0B1110FA FF0000FA
	v_mul_f32_dpp v137, v250, v137 quad_perm:[1,1,1,1] row_mask:0xf bank_mask:0xf// 000000025134: 0B1312FA FF0055FA
	v_mul_f32_dpp v138, v250, v138 quad_perm:[2,2,2,2] row_mask:0xf bank_mask:0xf// 00000002513C: 0B1514FA FF00AAFA
	v_mul_f32_dpp v139, v250, v139 quad_perm:[3,3,3,3] row_mask:0xf bank_mask:0xf// 000000025144: 0B1716FA FF00FFFA
	v_mul_f32_dpp v140, v251, v140 quad_perm:[0,0,0,0] row_mask:0xf bank_mask:0xf// 00000002514C: 0B1918FA FF0000FB
	v_mul_f32_dpp v141, v251, v141 quad_perm:[1,1,1,1] row_mask:0xf bank_mask:0xf// 000000025154: 0B1B1AFA FF0055FB
	v_mul_f32_dpp v142, v251, v142 quad_perm:[2,2,2,2] row_mask:0xf bank_mask:0xf// 00000002515C: 0B1D1CFA FF00AAFB
	v_mul_f32_dpp v143, v251, v143 quad_perm:[3,3,3,3] row_mask:0xf bank_mask:0xf// 000000025164: 0B1F1EFA FF00FFFB
	s_and_b32 s60, s72, 0xff                                   // 00000002516C: 863CFF48 000000FF
	v_mov_b32_e32 v65, s60                                     // 000000025174: 7E82023C
	v_lshrrev_b32_e32 v240, 4, v0                              // 000000025178: 21E00084
	v_mul_i32_i24_e32 v240, 4, v240                            // 00000002517C: 0DE1E084
	s_mul_i32 s60, s7, 16                                      // 000000025180: 923C9007
	v_add_u32_e32 v240, s60, v240                              // 000000025184: 69E1E03C
	v_add_u32_e32 v241, 1, v240                                // 000000025188: 69E3E081
	v_add_u32_e32 v242, 2, v240                                // 00000002518C: 69E5E082
	v_add_u32_e32 v243, 3, v240                                // 000000025190: 69E7E083
	v_mov_b32_e32 v64, 0xff800000                              // 000000025194: 7E8002FF FF800000
	v_cmp_lt_u32_e64 s[40:41], v240, v65                       // 00000002519C: D0C90028 000283F0
	v_add_u32_e32 v240, 64, v240                               // 0000000251A4: 69E1E0C0
	s_nop 0                                                    // 0000000251A8: BF800000
	v_cndmask_b32_e64 v128, v64, v128, s[40:41]                // 0000000251AC: D1000080 00A30140
	v_cmp_lt_u32_e64 s[40:41], v241, v65                       // 0000000251B4: D0C90028 000283F1
	v_add_u32_e32 v241, 64, v241                               // 0000000251BC: 69E3E2C0
	s_nop 0                                                    // 0000000251C0: BF800000
	v_cndmask_b32_e64 v129, v64, v129, s[40:41]                // 0000000251C4: D1000081 00A30340
	v_cmp_lt_u32_e64 s[40:41], v242, v65                       // 0000000251CC: D0C90028 000283F2
	v_add_u32_e32 v242, 64, v242                               // 0000000251D4: 69E5E4C0
	s_nop 0                                                    // 0000000251D8: BF800000
	v_cndmask_b32_e64 v130, v64, v130, s[40:41]                // 0000000251DC: D1000082 00A30540
	v_cmp_lt_u32_e64 s[40:41], v243, v65                       // 0000000251E4: D0C90028 000283F3
	v_add_u32_e32 v243, 64, v243                               // 0000000251EC: 69E7E6C0
	s_nop 0                                                    // 0000000251F0: BF800000
	v_cndmask_b32_e64 v131, v64, v131, s[40:41]                // 0000000251F4: D1000083 00A30740
	v_cmp_lt_u32_e64 s[40:41], v240, v65                       // 0000000251FC: D0C90028 000283F0
	v_add_u32_e32 v240, 64, v240                               // 000000025204: 69E1E0C0
	s_nop 0                                                    // 000000025208: BF800000
	v_cndmask_b32_e64 v132, v64, v132, s[40:41]                // 00000002520C: D1000084 00A30940
	v_cmp_lt_u32_e64 s[40:41], v241, v65                       // 000000025214: D0C90028 000283F1
	v_add_u32_e32 v241, 64, v241                               // 00000002521C: 69E3E2C0
	s_nop 0                                                    // 000000025220: BF800000
	v_cndmask_b32_e64 v133, v64, v133, s[40:41]                // 000000025224: D1000085 00A30B40
	v_cmp_lt_u32_e64 s[40:41], v242, v65                       // 00000002522C: D0C90028 000283F2
	v_add_u32_e32 v242, 64, v242                               // 000000025234: 69E5E4C0
	s_nop 0                                                    // 000000025238: BF800000
	v_cndmask_b32_e64 v134, v64, v134, s[40:41]                // 00000002523C: D1000086 00A30D40
	v_cmp_lt_u32_e64 s[40:41], v243, v65                       // 000000025244: D0C90028 000283F3
	v_add_u32_e32 v243, 64, v243                               // 00000002524C: 69E7E6C0
	s_nop 0                                                    // 000000025250: BF800000
	v_cndmask_b32_e64 v135, v64, v135, s[40:41]                // 000000025254: D1000087 00A30F40
	v_cmp_lt_u32_e64 s[40:41], v240, v65                       // 00000002525C: D0C90028 000283F0
	v_add_u32_e32 v240, 64, v240                               // 000000025264: 69E1E0C0
	s_nop 0                                                    // 000000025268: BF800000
	v_cndmask_b32_e64 v136, v64, v136, s[40:41]                // 00000002526C: D1000088 00A31140
	v_cmp_lt_u32_e64 s[40:41], v241, v65                       // 000000025274: D0C90028 000283F1
	v_add_u32_e32 v241, 64, v241                               // 00000002527C: 69E3E2C0
	s_nop 0                                                    // 000000025280: BF800000
	v_cndmask_b32_e64 v137, v64, v137, s[40:41]                // 000000025284: D1000089 00A31340
	v_cmp_lt_u32_e64 s[40:41], v242, v65                       // 00000002528C: D0C90028 000283F2
	v_add_u32_e32 v242, 64, v242                               // 000000025294: 69E5E4C0
	s_nop 0                                                    // 000000025298: BF800000
	v_cndmask_b32_e64 v138, v64, v138, s[40:41]                // 00000002529C: D100008A 00A31540
	v_cmp_lt_u32_e64 s[40:41], v243, v65                       // 0000000252A4: D0C90028 000283F3
	v_add_u32_e32 v243, 64, v243                               // 0000000252AC: 69E7E6C0
	s_nop 0                                                    // 0000000252B0: BF800000
	v_cndmask_b32_e64 v139, v64, v139, s[40:41]                // 0000000252B4: D100008B 00A31740
	v_cmp_lt_u32_e64 s[40:41], v240, v65                       // 0000000252BC: D0C90028 000283F0
	v_add_u32_e32 v240, 64, v240                               // 0000000252C4: 69E1E0C0
	s_nop 0                                                    // 0000000252C8: BF800000
	v_cndmask_b32_e64 v140, v64, v140, s[40:41]                // 0000000252CC: D100008C 00A31940
	v_cmp_lt_u32_e64 s[40:41], v241, v65                       // 0000000252D4: D0C90028 000283F1
	v_add_u32_e32 v241, 64, v241                               // 0000000252DC: 69E3E2C0
	s_nop 0                                                    // 0000000252E0: BF800000
	v_cndmask_b32_e64 v141, v64, v141, s[40:41]                // 0000000252E4: D100008D 00A31B40
	v_cmp_lt_u32_e64 s[40:41], v242, v65                       // 0000000252EC: D0C90028 000283F2
	v_add_u32_e32 v242, 64, v242                               // 0000000252F4: 69E5E4C0
	s_nop 0                                                    // 0000000252F8: BF800000
	v_cndmask_b32_e64 v142, v64, v142, s[40:41]                // 0000000252FC: D100008E 00A31D40
	v_cmp_lt_u32_e64 s[40:41], v243, v65                       // 000000025304: D0C90028 000283F3
	v_add_u32_e32 v243, 64, v243                               // 00000002530C: 69E7E6C0
	s_nop 0                                                    // 000000025310: BF800000
	v_cndmask_b32_e64 v143, v64, v143, s[40:41]                // 000000025314: D100008F 00A31F40
	v_mov_b32_e32 v48, v128                                    // 00000002531C: 7E600380
	v_max3_f32 v48, v128, v129, v48                            // 000000025320: D1D30030 04C30380
	v_max3_f32 v48, v130, v131, v48                            // 000000025328: D1D30030 04C30782
	v_max3_f32 v48, v132, v133, v48                            // 000000025330: D1D30030 04C30B84
	v_max3_f32 v48, v134, v135, v48                            // 000000025338: D1D30030 04C30F86
	v_max3_f32 v48, v136, v137, v48                            // 000000025340: D1D30030 04C31388
	v_max3_f32 v48, v138, v139, v48                            // 000000025348: D1D30030 04C3178A
	v_max3_f32 v48, v140, v141, v48                            // 000000025350: D1D30030 04C31B8C
	v_max3_f32 v48, v142, v143, v48                            // 000000025358: D1D30030 04C31F8E
	ds_write_b32 v8, v48 offset:16896                          // 000000025360: D81A4200 00003008
	v_mul_f32_e32 v216, v50, v216                              // 000000025368: 0BB1B132
	v_mul_f32_e32 v217, v50, v217                              // 00000002536C: 0BB3B332
	v_mul_f32_e32 v218, v50, v218                              // 000000025370: 0BB5B532
	v_mul_f32_e32 v219, v50, v219                              // 000000025374: 0BB7B732
	v_mul_f32_e32 v220, v50, v220                              // 000000025378: 0BB9B932
	v_mul_f32_e32 v221, v50, v221                              // 00000002537C: 0BBBBB32
	v_mul_f32_e32 v222, v50, v222                              // 000000025380: 0BBDBD32
	v_mul_f32_e32 v223, v50, v223                              // 000000025384: 0BBFBF32
	s_waitcnt lgkmcnt(0)                                       // 000000025388: BF8CC07F
	s_barrier                                                  // 00000002538C: BF8A0000
	ds_read_b32 v64, v7 offset:16896                           // 000000025390: D86C4200 40000007
	ds_read_b32 v65, v7 offset:16960                           // 000000025398: D86C4240 41000007
	ds_read_b32 v66, v7 offset:17024                           // 0000000253A0: D86C4280 42000007
	ds_read_b32 v67, v7 offset:17088                           // 0000000253A8: D86C42C0 43000007
	ds_read_b32 v68, v7 offset:17152                           // 0000000253B0: D86C4300 44000007
	ds_read_b32 v69, v7 offset:17216                           // 0000000253B8: D86C4340 45000007
	ds_read_b32 v70, v7 offset:17280                           // 0000000253C0: D86C4380 46000007
	ds_read_b32 v71, v7 offset:17344                           // 0000000253C8: D86C43C0 47000007
	ds_read_b32 v72, v7 offset:17408                           // 0000000253D0: D86C4400 48000007
	ds_read_b32 v73, v7 offset:17472                           // 0000000253D8: D86C4440 49000007
	ds_read_b32 v74, v7 offset:17536                           // 0000000253E0: D86C4480 4A000007
	ds_read_b32 v75, v7 offset:17600                           // 0000000253E8: D86C44C0 4B000007
	ds_read_b32 v76, v7 offset:17664                           // 0000000253F0: D86C4500 4C000007
	ds_read_b32 v77, v7 offset:17728                           // 0000000253F8: D86C4540 4D000007
	ds_read_b32 v78, v7 offset:17792                           // 000000025400: D86C4580 4E000007
	ds_read_b32 v79, v7 offset:17856                           // 000000025408: D86C45C0 4F000007
	v_mul_f32_e32 v184, v45, v184                              // 000000025410: 0B71712D
	v_mul_f32_e32 v185, v45, v185                              // 000000025414: 0B73732D
	v_mul_f32_e32 v186, v45, v186                              // 000000025418: 0B75752D
	v_mul_f32_e32 v187, v45, v187                              // 00000002541C: 0B77772D
	v_mul_f32_e32 v188, v45, v188                              // 000000025420: 0B79792D
	v_mul_f32_e32 v189, v45, v189                              // 000000025424: 0B7B7B2D
	v_mul_f32_e32 v190, v45, v190                              // 000000025428: 0B7D7D2D
	v_mul_f32_e32 v191, v45, v191                              // 00000002542C: 0B7F7F2D
	s_waitcnt lgkmcnt(0)                                       // 000000025430: BF8CC07F
	v_max3_f32 v48, v64, v65, v48                              // 000000025434: D1D30030 04C28340
	v_max3_f32 v48, v66, v67, v48                              // 00000002543C: D1D30030 04C28742
	v_max3_f32 v48, v68, v69, v48                              // 000000025444: D1D30030 04C28B44
	v_max3_f32 v48, v70, v71, v48                              // 00000002544C: D1D30030 04C28F46
	v_max3_f32 v48, v72, v73, v48                              // 000000025454: D1D30030 04C29348
	v_max3_f32 v48, v74, v75, v48                              // 00000002545C: D1D30030 04C2974A
	v_max3_f32 v48, v76, v77, v48                              // 000000025464: D1D30030 04C29B4C
	v_max3_f32 v48, v78, v79, v48                              // 00000002546C: D1D30030 04C29F4E
	v_mov_b32_e32 v64, 0xff800000                              // 000000025474: 7E8002FF FF800000
	v_cmp_eq_u32_e64 s[40:41], v64, v12                        // 00000002547C: D0CA0028 00021940
	s_nop 1                                                    // 000000025484: BF800001
	v_max_f32_e32 v15, v48, v12                                // 000000025488: 161E1930
	v_mul_f32_e32 v53, s64, v15                                // 00000002548C: 0A6A1E40
	v_fma_f32 v128, v128, s64, -v53                            // 000000025490: D1CB0080 84D48180
	v_fma_f32 v129, v129, s64, -v53                            // 000000025498: D1CB0081 84D48181
	v_fma_f32 v130, v130, s64, -v53                            // 0000000254A0: D1CB0082 84D48182
	v_fma_f32 v131, v131, s64, -v53                            // 0000000254A8: D1CB0083 84D48183
	v_fma_f32 v132, v132, s64, -v53                            // 0000000254B0: D1CB0084 84D48184
	v_fma_f32 v133, v133, s64, -v53                            // 0000000254B8: D1CB0085 84D48185
	v_fma_f32 v134, v134, s64, -v53                            // 0000000254C0: D1CB0086 84D48186
	v_fma_f32 v135, v135, s64, -v53                            // 0000000254C8: D1CB0087 84D48187
	v_fma_f32 v136, v136, s64, -v53                            // 0000000254D0: D1CB0088 84D48188
	v_fma_f32 v137, v137, s64, -v53                            // 0000000254D8: D1CB0089 84D48189
	v_fma_f32 v138, v138, s64, -v53                            // 0000000254E0: D1CB008A 84D4818A
	v_fma_f32 v139, v139, s64, -v53                            // 0000000254E8: D1CB008B 84D4818B
	v_fma_f32 v140, v140, s64, -v53                            // 0000000254F0: D1CB008C 84D4818C
	v_fma_f32 v141, v141, s64, -v53                            // 0000000254F8: D1CB008D 84D4818D
	v_fma_f32 v142, v142, s64, -v53                            // 000000025500: D1CB008E 84D4818E
	v_fma_f32 v143, v143, s64, -v53                            // 000000025508: D1CB008F 84D4818F
	v_exp_f32_e32 v128, v128                                   // 000000025510: 7F004180
	v_exp_f32_e32 v129, v129                                   // 000000025514: 7F024181
	v_exp_f32_e32 v130, v130                                   // 000000025518: 7F044182
	v_exp_f32_e32 v131, v131                                   // 00000002551C: 7F064183
	v_exp_f32_e32 v132, v132                                   // 000000025520: 7F084184
	v_exp_f32_e32 v133, v133                                   // 000000025524: 7F0A4185
	v_exp_f32_e32 v134, v134                                   // 000000025528: 7F0C4186
	v_exp_f32_e32 v135, v135                                   // 00000002552C: 7F0E4187
	v_exp_f32_e32 v136, v136                                   // 000000025530: 7F104188
	v_exp_f32_e32 v137, v137                                   // 000000025534: 7F124189
	v_exp_f32_e32 v138, v138                                   // 000000025538: 7F14418A
	v_exp_f32_e32 v139, v139                                   // 00000002553C: 7F16418B
	v_exp_f32_e32 v140, v140                                   // 000000025540: 7F18418C
	v_exp_f32_e32 v141, v141                                   // 000000025544: 7F1A418D
	v_exp_f32_e32 v142, v142                                   // 000000025548: 7F1C418E
	v_exp_f32_e32 v143, v143                                   // 00000002554C: 7F1E418F
	v_mul_f32_dpp v240, v252, v128 quad_perm:[0,0,0,0] row_mask:0xf bank_mask:0xf// 000000025550: 0BE100FA FF0000FC
	v_mul_f32_dpp v241, v252, v129 quad_perm:[1,1,1,1] row_mask:0xf bank_mask:0xf// 000000025558: 0BE302FA FF0055FC
	v_mul_f32_dpp v242, v252, v130 quad_perm:[2,2,2,2] row_mask:0xf bank_mask:0xf// 000000025560: 0BE504FA FF00AAFC
	v_mul_f32_dpp v243, v252, v131 quad_perm:[3,3,3,3] row_mask:0xf bank_mask:0xf// 000000025568: 0BE706FA FF00FFFC
	v_mul_f32_dpp v244, v253, v132 quad_perm:[0,0,0,0] row_mask:0xf bank_mask:0xf// 000000025570: 0BE908FA FF0000FD
	v_mul_f32_dpp v245, v253, v133 quad_perm:[1,1,1,1] row_mask:0xf bank_mask:0xf// 000000025578: 0BEB0AFA FF0055FD
	v_mul_f32_dpp v246, v253, v134 quad_perm:[2,2,2,2] row_mask:0xf bank_mask:0xf// 000000025580: 0BED0CFA FF00AAFD
	v_mul_f32_dpp v247, v253, v135 quad_perm:[3,3,3,3] row_mask:0xf bank_mask:0xf// 000000025588: 0BEF0EFA FF00FFFD
	v_mul_f32_dpp v248, v254, v136 quad_perm:[0,0,0,0] row_mask:0xf bank_mask:0xf// 000000025590: 0BF110FA FF0000FE
	v_mul_f32_dpp v249, v254, v137 quad_perm:[1,1,1,1] row_mask:0xf bank_mask:0xf// 000000025598: 0BF312FA FF0055FE
	v_mul_f32_dpp v250, v254, v138 quad_perm:[2,2,2,2] row_mask:0xf bank_mask:0xf// 0000000255A0: 0BF514FA FF00AAFE
	v_mul_f32_dpp v251, v254, v139 quad_perm:[3,3,3,3] row_mask:0xf bank_mask:0xf// 0000000255A8: 0BF716FA FF00FFFE
	v_mul_f32_dpp v252, v255, v140 quad_perm:[0,0,0,0] row_mask:0xf bank_mask:0xf// 0000000255B0: 0BF918FA FF0000FF
	v_mul_f32_dpp v253, v255, v141 quad_perm:[1,1,1,1] row_mask:0xf bank_mask:0xf// 0000000255B8: 0BFB1AFA FF0055FF
	v_mul_f32_dpp v254, v255, v142 quad_perm:[2,2,2,2] row_mask:0xf bank_mask:0xf// 0000000255C0: 0BFD1CFA FF00AAFF
	v_mul_f32_dpp v255, v255, v143 quad_perm:[3,3,3,3] row_mask:0xf bank_mask:0xf// 0000000255C8: 0BFF1EFA FF00FFFF
	v_mov_b32_e32 v48, 0x358637bd                              // 0000000255D0: 7E6002FF 358637BD
	v_max3_f32 v48, |v240|, |v241|, v48                        // 0000000255D8: D1D30330 04C3E3F0
	v_max3_f32 v48, |v242|, |v243|, v48                        // 0000000255E0: D1D30330 04C3E7F2
	v_max3_f32 v48, |v244|, |v245|, v48                        // 0000000255E8: D1D30330 04C3EBF4
	v_max3_f32 v48, |v246|, |v247|, v48                        // 0000000255F0: D1D30330 04C3EFF6
	v_max3_f32 v48, |v248|, |v249|, v48                        // 0000000255F8: D1D30330 04C3F3F8
	v_max3_f32 v48, |v250|, |v251|, v48                        // 000000025600: D1D30330 04C3F7FA
	v_max3_f32 v48, |v252|, |v253|, v48                        // 000000025608: D1D30330 04C3FBFC
	v_max3_f32 v48, |v254|, |v255|, v48                        // 000000025610: D1D30330 04C3FFFE
	ds_write_b32 v8, v48 offset:20992                          // 000000025618: D81A5200 00003008
	v_sub_f32_e32 v50, v12, v15                                // 000000025620: 04641F0C
	v_cndmask_b32_e64 v50, v50, 0, s[40:41]                    // 000000025624: D1000032 00A10132
	v_mov_b32_e32 v12, v15                                     // 00000002562C: 7E18030F
	v_mul_f32_e32 v50, s64, v50                                // 000000025630: 0A646440
	v_exp_f32_e32 v50, v50                                     // 000000025634: 7E644132
	s_waitcnt lgkmcnt(0)                                       // 000000025638: BF8CC07F
	s_barrier                                                  // 00000002563C: BF8A0000
	ds_read_b32 v64, v7 offset:20992                           // 000000025640: D86C5200 40000007
	ds_read_b32 v65, v7 offset:21056                           // 000000025648: D86C5240 41000007
	ds_read_b32 v66, v7 offset:21120                           // 000000025650: D86C5280 42000007
	ds_read_b32 v67, v7 offset:21184                           // 000000025658: D86C52C0 43000007
	ds_read_b32 v68, v7 offset:21248                           // 000000025660: D86C5300 44000007
	ds_read_b32 v69, v7 offset:21312                           // 000000025668: D86C5340 45000007
	ds_read_b32 v70, v7 offset:21376                           // 000000025670: D86C5380 46000007
	ds_read_b32 v71, v7 offset:21440                           // 000000025678: D86C53C0 47000007
	ds_read_b32 v72, v7 offset:21504                           // 000000025680: D86C5400 48000007
	ds_read_b32 v73, v7 offset:21568                           // 000000025688: D86C5440 49000007
	ds_read_b32 v74, v7 offset:21632                           // 000000025690: D86C5480 4A000007
	ds_read_b32 v75, v7 offset:21696                           // 000000025698: D86C54C0 4B000007
	ds_read_b32 v76, v7 offset:21760                           // 0000000256A0: D86C5500 4C000007
	ds_read_b32 v77, v7 offset:21824                           // 0000000256A8: D86C5540 4D000007
	ds_read_b32 v78, v7 offset:21888                           // 0000000256B0: D86C5580 4E000007
	ds_read_b32 v79, v7 offset:21952                           // 0000000256B8: D86C55C0 4F000007
	v_mul_f32_e32 v39, v50, v39                                // 0000000256C0: 0A4E4F32
	v_mov_b32_e32 v15, v128                                    // 0000000256C4: 7E1E0380
	v_add_f32_e32 v15, v129, v15                               // 0000000256C8: 021E1F81
	v_add_f32_e32 v15, v130, v15                               // 0000000256CC: 021E1F82
	v_add_f32_e32 v15, v131, v15                               // 0000000256D0: 021E1F83
	v_add_f32_e32 v15, v132, v15                               // 0000000256D4: 021E1F84
	v_add_f32_e32 v15, v133, v15                               // 0000000256D8: 021E1F85
	v_add_f32_e32 v15, v134, v15                               // 0000000256DC: 021E1F86
	v_add_f32_e32 v15, v135, v15                               // 0000000256E0: 021E1F87
	v_add_f32_e32 v15, v136, v15                               // 0000000256E4: 021E1F88
	v_add_f32_e32 v15, v137, v15                               // 0000000256E8: 021E1F89
	v_add_f32_e32 v15, v138, v15                               // 0000000256EC: 021E1F8A
	v_add_f32_e32 v15, v139, v15                               // 0000000256F0: 021E1F8B
	v_add_f32_e32 v15, v140, v15                               // 0000000256F4: 021E1F8C
	v_add_f32_e32 v15, v141, v15                               // 0000000256F8: 021E1F8D
	v_add_f32_e32 v15, v142, v15                               // 0000000256FC: 021E1F8E
	v_add_f32_e32 v15, v143, v15                               // 000000025700: 021E1F8F
	v_add_f32_e32 v39, v15, v39                                // 000000025704: 024E4F0F
	s_waitcnt lgkmcnt(0)                                       // 000000025708: BF8CC07F
	v_max3_f32 v48, |v64|, |v65|, v48                          // 00000002570C: D1D30330 04C28340
	v_max3_f32 v48, |v66|, |v67|, v48                          // 000000025714: D1D30330 04C28742
	v_max3_f32 v48, |v68|, |v69|, v48                          // 00000002571C: D1D30330 04C28B44
	v_max3_f32 v48, |v70|, |v71|, v48                          // 000000025724: D1D30330 04C28F46
	v_max3_f32 v48, |v72|, |v73|, v48                          // 00000002572C: D1D30330 04C29348
	v_max3_f32 v48, |v74|, |v75|, v48                          // 000000025734: D1D30330 04C2974A
	v_max3_f32 v48, |v76|, |v77|, v48                          // 00000002573C: D1D30330 04C29B4C
	v_max3_f32 v48, |v78|, |v79|, v48                          // 000000025744: D1D30330 04C29F4E
	s_nop 2                                                    // 00000002574C: BF800002
	v_rcp_f32_e32 v48, v48                                     // 000000025750: 7E604530
	s_nop 1                                                    // 000000025754: BF800001
	v_mul_f32_e32 v48, 0x43e00000, v48                         // 000000025758: 0A6060FF 43E00000
	v_mul_f32_e32 v128, v48, v240                              // 000000025760: 0B01E130
	v_mul_f32_e32 v129, v48, v241                              // 000000025764: 0B03E330
	v_mul_f32_e32 v130, v48, v242                              // 000000025768: 0B05E530
	v_mul_f32_e32 v131, v48, v243                              // 00000002576C: 0B07E730
	v_mul_f32_e32 v132, v48, v244                              // 000000025770: 0B09E930
	v_mul_f32_e32 v133, v48, v245                              // 000000025774: 0B0BEB30
	v_mul_f32_e32 v134, v48, v246                              // 000000025778: 0B0DED30
	v_mul_f32_e32 v135, v48, v247                              // 00000002577C: 0B0FEF30
	v_mul_f32_e32 v136, v48, v248                              // 000000025780: 0B11F130
	v_mul_f32_e32 v137, v48, v249                              // 000000025784: 0B13F330
	v_mul_f32_e32 v138, v48, v250                              // 000000025788: 0B15F530
	v_mul_f32_e32 v139, v48, v251                              // 00000002578C: 0B17F730
	v_mul_f32_e32 v140, v48, v252                              // 000000025790: 0B19F930
	v_mul_f32_e32 v141, v48, v253                              // 000000025794: 0B1BFB30
	v_mul_f32_e32 v142, v48, v254                              // 000000025798: 0B1DFD30
	v_mul_f32_e32 v143, v48, v255                              // 00000002579C: 0B1FFF30
	v_cvt_pk_fp8_f32 v128, v128, v129                          // 0000000257A0: D2A20080 00030380
	v_cvt_pk_fp8_f32 v128, v130, v131 op_sel:[0,0,1]           // 0000000257A8: D2A24080 00030782
	v_cvt_pk_fp8_f32 v129, v132, v133                          // 0000000257B0: D2A20081 00030B84
	v_cvt_pk_fp8_f32 v129, v134, v135 op_sel:[0,0,1]           // 0000000257B8: D2A24081 00030F86
	v_cvt_pk_fp8_f32 v130, v136, v137                          // 0000000257C0: D2A20082 00031388
	v_cvt_pk_fp8_f32 v130, v138, v139 op_sel:[0,0,1]           // 0000000257C8: D2A24082 0003178A
	v_cvt_pk_fp8_f32 v131, v140, v141                          // 0000000257D0: D2A20083 00031B8C
	v_cvt_pk_fp8_f32 v131, v142, v143 op_sel:[0,0,1]           // 0000000257D8: D2A24083 00031F8E
	ds_write_b32 v10, v128 offset:29184                        // 0000000257E0: D81A7200 0000800A
	ds_write_b32 v10, v129 offset:30208                        // 0000000257E8: D81A7600 0000810A
	ds_write_b32 v10, v130 offset:31232                        // 0000000257F0: D81A7A00 0000820A
	ds_write_b32 v10, v131 offset:32256                        // 0000000257F8: D81A7E00 0000830A
	v_add_f32_e32 v216, v216, v184                             // 000000025800: 03B171D8
	v_add_f32_e32 v217, v217, v185                             // 000000025804: 03B373D9
	v_add_f32_e32 v218, v218, v186                             // 000000025808: 03B575DA
	v_add_f32_e32 v219, v219, v187                             // 00000002580C: 03B777DB
	v_add_f32_e32 v220, v220, v188                             // 000000025810: 03B979DC
	v_add_f32_e32 v221, v221, v189                             // 000000025814: 03BB7BDD
	v_add_f32_e32 v222, v222, v190                             // 000000025818: 03BD7DDE
	v_add_f32_e32 v223, v223, v191                             // 00000002581C: 03BF7FDF
	v_rcp_f32_e32 v45, v48                                     // 000000025820: 7E5A4530
	s_waitcnt lgkmcnt(0)                                       // 000000025824: BF8CC07F
	s_barrier                                                  // 000000025828: BF8A0000
	ds_read_b64 v[128:129], v9 offset:29184                    // 00000002582C: D8EC7200 80000009
	ds_read_b64 v[130:131], v9 offset:29312                    // 000000025834: D8EC7280 82000009
	ds_read_b64 v[132:133], v9 offset:30208                    // 00000002583C: D8EC7600 84000009
	ds_read_b64 v[134:135], v9 offset:30336                    // 000000025844: D8EC7680 86000009
	ds_read_b64 v[136:137], v9 offset:31232                    // 00000002584C: D8EC7A00 88000009
	ds_read_b64 v[138:139], v9 offset:31360                    // 000000025854: D8EC7A80 8A000009
	ds_read_b64 v[140:141], v9 offset:32256                    // 00000002585C: D8EC7E00 8C000009
	ds_read_b64 v[142:143], v9 offset:32384                    // 000000025864: D8EC7E80 8E000009
	v_mov_b32_dpp v64, v43 row_shr:4 row_mask:0xf bank_mask:0xf// 00000002586C: 7E8002FA FF01142B
	v_mov_b32_dpp v65, v43 row_shl:4 row_mask:0xf bank_mask:0xf// 000000025874: 7E8202FA FF01042B
	v_cndmask_b32_e64 v248, v43, v64, s[44:45]                 // 00000002587C: D10000F8 00B2812B
	v_cndmask_b32_e64 v249, v65, v43, s[44:45]                 // 000000025884: D10000F9 00B25741
	v_mov_b32_dpp v64, v248 row_shr:8 row_mask:0xf bank_mask:0xf// 00000002588C: 7E8002FA FF0118F8
	v_mov_b32_dpp v65, v248 row_shl:8 row_mask:0xf bank_mask:0xf// 000000025894: 7E8202FA FF0108F8
	v_mov_b32_dpp v66, v249 row_shr:8 row_mask:0xf bank_mask:0xf// 00000002589C: 7E8402FA FF0118F9
	v_mov_b32_dpp v67, v249 row_shl:8 row_mask:0xf bank_mask:0xf// 0000000258A4: 7E8602FA FF0108F9
	v_mov_b32_e32 v68, v248                                    // 0000000258AC: 7E8803F8
	v_mov_b32_e32 v69, v249                                    // 0000000258B0: 7E8A03F9
	v_cndmask_b32_e64 v248, v68, v64, s[42:43]                 // 0000000258B4: D10000F8 00AA8144
	v_cndmask_b32_e64 v250, v68, v65, s[78:79]                 // 0000000258BC: D10000FA 013A8344
	v_cndmask_b32_e64 v249, v69, v66, s[42:43]                 // 0000000258C4: D10000F9 00AA8545
	v_cndmask_b32_e64 v251, v69, v67, s[78:79]                 // 0000000258CC: D10000FB 013A8745
	v_mov_b32_dpp v64, v58 row_shr:4 row_mask:0xf bank_mask:0xf// 0000000258D4: 7E8002FA FF01143A
	v_mov_b32_dpp v65, v58 row_shl:4 row_mask:0xf bank_mask:0xf// 0000000258DC: 7E8202FA FF01043A
	v_cndmask_b32_e64 v252, v58, v64, s[44:45]                 // 0000000258E4: D10000FC 00B2813A
	v_cndmask_b32_e64 v253, v65, v58, s[44:45]                 // 0000000258EC: D10000FD 00B27541
	v_mov_b32_dpp v64, v252 row_shr:8 row_mask:0xf bank_mask:0xf// 0000000258F4: 7E8002FA FF0118FC
	v_mov_b32_dpp v65, v252 row_shl:8 row_mask:0xf bank_mask:0xf// 0000000258FC: 7E8202FA FF0108FC
	v_mov_b32_dpp v66, v253 row_shr:8 row_mask:0xf bank_mask:0xf// 000000025904: 7E8402FA FF0118FD
	v_mov_b32_dpp v67, v253 row_shl:8 row_mask:0xf bank_mask:0xf// 00000002590C: 7E8602FA FF0108FD
	v_mov_b32_e32 v68, v252                                    // 000000025914: 7E8803FC
	v_mov_b32_e32 v69, v253                                    // 000000025918: 7E8A03FD
	v_cndmask_b32_e64 v252, v68, v64, s[42:43]                 // 00000002591C: D10000FC 00AA8144
	v_cndmask_b32_e64 v254, v68, v65, s[78:79]                 // 000000025924: D10000FE 013A8344
	v_cndmask_b32_e64 v253, v69, v66, s[42:43]                 // 00000002592C: D10000FD 00AA8545
	v_cndmask_b32_e64 v255, v69, v67, s[78:79]                 // 000000025934: D10000FF 013A8745
	v_mul_f32_e32 v144, v20, v144                              // 00000002593C: 0B212114
	v_mul_f32_e32 v145, v20, v145                              // 000000025940: 0B232314
	v_mul_f32_e32 v146, v20, v146                              // 000000025944: 0B252514
	v_mul_f32_e32 v147, v20, v147                              // 000000025948: 0B272714
	v_mul_f32_e32 v148, v20, v148                              // 00000002594C: 0B292914
	v_mul_f32_e32 v149, v20, v149                              // 000000025950: 0B2B2B14
	v_mul_f32_e32 v150, v20, v150                              // 000000025954: 0B2D2D14
	v_mul_f32_e32 v151, v20, v151                              // 000000025958: 0B2F2F14
	v_mul_f32_e32 v152, v20, v152                              // 00000002595C: 0B313114
	v_mul_f32_e32 v153, v20, v153                              // 000000025960: 0B333314
	v_mul_f32_e32 v154, v20, v154                              // 000000025964: 0B353514
	v_mul_f32_e32 v155, v20, v155                              // 000000025968: 0B373714
	v_mul_f32_e32 v156, v20, v156                              // 00000002596C: 0B393914
	v_mul_f32_e32 v157, v20, v157                              // 000000025970: 0B3B3B14
	v_mul_f32_e32 v158, v20, v158                              // 000000025974: 0B3D3D14
	v_mul_f32_e32 v159, v20, v159                              // 000000025978: 0B3F3F14
	v_mul_f32_dpp v144, v248, v144 quad_perm:[0,0,0,0] row_mask:0xf bank_mask:0xf// 00000002597C: 0B2120FA FF0000F8
	v_mul_f32_dpp v145, v248, v145 quad_perm:[1,1,1,1] row_mask:0xf bank_mask:0xf// 000000025984: 0B2322FA FF0055F8
	v_mul_f32_dpp v146, v248, v146 quad_perm:[2,2,2,2] row_mask:0xf bank_mask:0xf// 00000002598C: 0B2524FA FF00AAF8
	v_mul_f32_dpp v147, v248, v147 quad_perm:[3,3,3,3] row_mask:0xf bank_mask:0xf// 000000025994: 0B2726FA FF00FFF8
	v_mul_f32_dpp v148, v249, v148 quad_perm:[0,0,0,0] row_mask:0xf bank_mask:0xf// 00000002599C: 0B2928FA FF0000F9
	v_mul_f32_dpp v149, v249, v149 quad_perm:[1,1,1,1] row_mask:0xf bank_mask:0xf// 0000000259A4: 0B2B2AFA FF0055F9
	v_mul_f32_dpp v150, v249, v150 quad_perm:[2,2,2,2] row_mask:0xf bank_mask:0xf// 0000000259AC: 0B2D2CFA FF00AAF9
	v_mul_f32_dpp v151, v249, v151 quad_perm:[3,3,3,3] row_mask:0xf bank_mask:0xf// 0000000259B4: 0B2F2EFA FF00FFF9
	v_mul_f32_dpp v152, v250, v152 quad_perm:[0,0,0,0] row_mask:0xf bank_mask:0xf// 0000000259BC: 0B3130FA FF0000FA
	v_mul_f32_dpp v153, v250, v153 quad_perm:[1,1,1,1] row_mask:0xf bank_mask:0xf// 0000000259C4: 0B3332FA FF0055FA
	v_mul_f32_dpp v154, v250, v154 quad_perm:[2,2,2,2] row_mask:0xf bank_mask:0xf// 0000000259CC: 0B3534FA FF00AAFA
	v_mul_f32_dpp v155, v250, v155 quad_perm:[3,3,3,3] row_mask:0xf bank_mask:0xf// 0000000259D4: 0B3736FA FF00FFFA
	v_mul_f32_dpp v156, v251, v156 quad_perm:[0,0,0,0] row_mask:0xf bank_mask:0xf// 0000000259DC: 0B3938FA FF0000FB
	v_mul_f32_dpp v157, v251, v157 quad_perm:[1,1,1,1] row_mask:0xf bank_mask:0xf// 0000000259E4: 0B3B3AFA FF0055FB
	v_mul_f32_dpp v158, v251, v158 quad_perm:[2,2,2,2] row_mask:0xf bank_mask:0xf// 0000000259EC: 0B3D3CFA FF00AAFB
	v_mul_f32_dpp v159, v251, v159 quad_perm:[3,3,3,3] row_mask:0xf bank_mask:0xf// 0000000259F4: 0B3F3EFA FF00FFFB
	s_and_b32 s60, s72, 0xff                                   // 0000000259FC: 863CFF48 000000FF
	v_mov_b32_e32 v65, s60                                     // 000000025A04: 7E82023C
	v_lshrrev_b32_e32 v240, 4, v0                              // 000000025A08: 21E00084
	v_mul_i32_i24_e32 v240, 4, v240                            // 000000025A0C: 0DE1E084
	s_mul_i32 s60, s7, 16                                      // 000000025A10: 923C9007
	v_add_u32_e32 v240, s60, v240                              // 000000025A14: 69E1E03C
	v_add_u32_e32 v241, 1, v240                                // 000000025A18: 69E3E081
	v_add_u32_e32 v242, 2, v240                                // 000000025A1C: 69E5E082
	v_add_u32_e32 v243, 3, v240                                // 000000025A20: 69E7E083
	v_mov_b32_e32 v64, 0xff800000                              // 000000025A24: 7E8002FF FF800000
	v_cmp_lt_u32_e64 s[40:41], v240, v65                       // 000000025A2C: D0C90028 000283F0
	v_add_u32_e32 v240, 64, v240                               // 000000025A34: 69E1E0C0
	s_nop 0                                                    // 000000025A38: BF800000
	v_cndmask_b32_e64 v144, v64, v144, s[40:41]                // 000000025A3C: D1000090 00A32140
	v_cmp_lt_u32_e64 s[40:41], v241, v65                       // 000000025A44: D0C90028 000283F1
	v_add_u32_e32 v241, 64, v241                               // 000000025A4C: 69E3E2C0
	s_nop 0                                                    // 000000025A50: BF800000
	v_cndmask_b32_e64 v145, v64, v145, s[40:41]                // 000000025A54: D1000091 00A32340
	v_cmp_lt_u32_e64 s[40:41], v242, v65                       // 000000025A5C: D0C90028 000283F2
	v_add_u32_e32 v242, 64, v242                               // 000000025A64: 69E5E4C0
	s_nop 0                                                    // 000000025A68: BF800000
	v_cndmask_b32_e64 v146, v64, v146, s[40:41]                // 000000025A6C: D1000092 00A32540
	v_cmp_lt_u32_e64 s[40:41], v243, v65                       // 000000025A74: D0C90028 000283F3
	v_add_u32_e32 v243, 64, v243                               // 000000025A7C: 69E7E6C0
	s_nop 0                                                    // 000000025A80: BF800000
	v_cndmask_b32_e64 v147, v64, v147, s[40:41]                // 000000025A84: D1000093 00A32740
	v_cmp_lt_u32_e64 s[40:41], v240, v65                       // 000000025A8C: D0C90028 000283F0
	v_add_u32_e32 v240, 64, v240                               // 000000025A94: 69E1E0C0
	s_nop 0                                                    // 000000025A98: BF800000
	v_cndmask_b32_e64 v148, v64, v148, s[40:41]                // 000000025A9C: D1000094 00A32940
	v_cmp_lt_u32_e64 s[40:41], v241, v65                       // 000000025AA4: D0C90028 000283F1
	v_add_u32_e32 v241, 64, v241                               // 000000025AAC: 69E3E2C0
	s_nop 0                                                    // 000000025AB0: BF800000
	v_cndmask_b32_e64 v149, v64, v149, s[40:41]                // 000000025AB4: D1000095 00A32B40
	v_cmp_lt_u32_e64 s[40:41], v242, v65                       // 000000025ABC: D0C90028 000283F2
	v_add_u32_e32 v242, 64, v242                               // 000000025AC4: 69E5E4C0
	s_nop 0                                                    // 000000025AC8: BF800000
	v_cndmask_b32_e64 v150, v64, v150, s[40:41]                // 000000025ACC: D1000096 00A32D40
	v_cmp_lt_u32_e64 s[40:41], v243, v65                       // 000000025AD4: D0C90028 000283F3
	v_add_u32_e32 v243, 64, v243                               // 000000025ADC: 69E7E6C0
	s_nop 0                                                    // 000000025AE0: BF800000
	v_cndmask_b32_e64 v151, v64, v151, s[40:41]                // 000000025AE4: D1000097 00A32F40
	v_cmp_lt_u32_e64 s[40:41], v240, v65                       // 000000025AEC: D0C90028 000283F0
	v_add_u32_e32 v240, 64, v240                               // 000000025AF4: 69E1E0C0
	s_nop 0                                                    // 000000025AF8: BF800000
	v_cndmask_b32_e64 v152, v64, v152, s[40:41]                // 000000025AFC: D1000098 00A33140
	v_cmp_lt_u32_e64 s[40:41], v241, v65                       // 000000025B04: D0C90028 000283F1
	v_add_u32_e32 v241, 64, v241                               // 000000025B0C: 69E3E2C0
	s_nop 0                                                    // 000000025B10: BF800000
	v_cndmask_b32_e64 v153, v64, v153, s[40:41]                // 000000025B14: D1000099 00A33340
	v_cmp_lt_u32_e64 s[40:41], v242, v65                       // 000000025B1C: D0C90028 000283F2
	v_add_u32_e32 v242, 64, v242                               // 000000025B24: 69E5E4C0
	s_nop 0                                                    // 000000025B28: BF800000
	v_cndmask_b32_e64 v154, v64, v154, s[40:41]                // 000000025B2C: D100009A 00A33540
	v_cmp_lt_u32_e64 s[40:41], v243, v65                       // 000000025B34: D0C90028 000283F3
	v_add_u32_e32 v243, 64, v243                               // 000000025B3C: 69E7E6C0
	s_nop 0                                                    // 000000025B40: BF800000
	v_cndmask_b32_e64 v155, v64, v155, s[40:41]                // 000000025B44: D100009B 00A33740
	v_cmp_lt_u32_e64 s[40:41], v240, v65                       // 000000025B4C: D0C90028 000283F0
	v_add_u32_e32 v240, 64, v240                               // 000000025B54: 69E1E0C0
	s_nop 0                                                    // 000000025B58: BF800000
	v_cndmask_b32_e64 v156, v64, v156, s[40:41]                // 000000025B5C: D100009C 00A33940
	v_cmp_lt_u32_e64 s[40:41], v241, v65                       // 000000025B64: D0C90028 000283F1
	v_add_u32_e32 v241, 64, v241                               // 000000025B6C: 69E3E2C0
	s_nop 0                                                    // 000000025B70: BF800000
	v_cndmask_b32_e64 v157, v64, v157, s[40:41]                // 000000025B74: D100009D 00A33B40
	v_cmp_lt_u32_e64 s[40:41], v242, v65                       // 000000025B7C: D0C90028 000283F2
	v_add_u32_e32 v242, 64, v242                               // 000000025B84: 69E5E4C0
	s_nop 0                                                    // 000000025B88: BF800000
	v_cndmask_b32_e64 v158, v64, v158, s[40:41]                // 000000025B8C: D100009E 00A33D40
	v_cmp_lt_u32_e64 s[40:41], v243, v65                       // 000000025B94: D0C90028 000283F3
	v_add_u32_e32 v243, 64, v243                               // 000000025B9C: 69E7E6C0
	s_nop 0                                                    // 000000025BA0: BF800000
	v_cndmask_b32_e64 v159, v64, v159, s[40:41]                // 000000025BA4: D100009F 00A33F40
	v_mov_b32_e32 v48, v144                                    // 000000025BAC: 7E600390
	v_max3_f32 v48, v144, v145, v48                            // 000000025BB0: D1D30030 04C32390
	v_max3_f32 v48, v146, v147, v48                            // 000000025BB8: D1D30030 04C32792
	v_max3_f32 v48, v148, v149, v48                            // 000000025BC0: D1D30030 04C32B94
	v_max3_f32 v48, v150, v151, v48                            // 000000025BC8: D1D30030 04C32F96
	v_max3_f32 v48, v152, v153, v48                            // 000000025BD0: D1D30030 04C33398
	v_max3_f32 v48, v154, v155, v48                            // 000000025BD8: D1D30030 04C3379A
	v_max3_f32 v48, v156, v157, v48                            // 000000025BE0: D1D30030 04C33B9C
	v_max3_f32 v48, v158, v159, v48                            // 000000025BE8: D1D30030 04C33F9E
	ds_write_b32 v8, v48 offset:16896                          // 000000025BF0: D81A4200 00003008
	v_mul_f32_e32 v224, v51, v224                              // 000000025BF8: 0BC1C133
	v_mul_f32_e32 v225, v51, v225                              // 000000025BFC: 0BC3C333
	v_mul_f32_e32 v226, v51, v226                              // 000000025C00: 0BC5C533
	v_mul_f32_e32 v227, v51, v227                              // 000000025C04: 0BC7C733
	v_mul_f32_e32 v228, v51, v228                              // 000000025C08: 0BC9C933
	v_mul_f32_e32 v229, v51, v229                              // 000000025C0C: 0BCBCB33
	v_mul_f32_e32 v230, v51, v230                              // 000000025C10: 0BCDCD33
	v_mul_f32_e32 v231, v51, v231                              // 000000025C14: 0BCFCF33
	s_waitcnt lgkmcnt(0)                                       // 000000025C18: BF8CC07F
	s_barrier                                                  // 000000025C1C: BF8A0000
	ds_read_b32 v64, v7 offset:16896                           // 000000025C20: D86C4200 40000007
	ds_read_b32 v65, v7 offset:16960                           // 000000025C28: D86C4240 41000007
	ds_read_b32 v66, v7 offset:17024                           // 000000025C30: D86C4280 42000007
	ds_read_b32 v67, v7 offset:17088                           // 000000025C38: D86C42C0 43000007
	ds_read_b32 v68, v7 offset:17152                           // 000000025C40: D86C4300 44000007
	ds_read_b32 v69, v7 offset:17216                           // 000000025C48: D86C4340 45000007
	ds_read_b32 v70, v7 offset:17280                           // 000000025C50: D86C4380 46000007
	ds_read_b32 v71, v7 offset:17344                           // 000000025C58: D86C43C0 47000007
	ds_read_b32 v72, v7 offset:17408                           // 000000025C60: D86C4400 48000007
	ds_read_b32 v73, v7 offset:17472                           // 000000025C68: D86C4440 49000007
	ds_read_b32 v74, v7 offset:17536                           // 000000025C70: D86C4480 4A000007
	ds_read_b32 v75, v7 offset:17600                           // 000000025C78: D86C44C0 4B000007
	ds_read_b32 v76, v7 offset:17664                           // 000000025C80: D86C4500 4C000007
	ds_read_b32 v77, v7 offset:17728                           // 000000025C88: D86C4540 4D000007
	ds_read_b32 v78, v7 offset:17792                           // 000000025C90: D86C4580 4E000007
	ds_read_b32 v79, v7 offset:17856                           // 000000025C98: D86C45C0 4F000007
	v_mul_f32_e32 v192, v46, v192                              // 000000025CA0: 0B81812E
	v_mul_f32_e32 v193, v46, v193                              // 000000025CA4: 0B83832E
	v_mul_f32_e32 v194, v46, v194                              // 000000025CA8: 0B85852E
	v_mul_f32_e32 v195, v46, v195                              // 000000025CAC: 0B87872E
	v_mul_f32_e32 v196, v46, v196                              // 000000025CB0: 0B89892E
	v_mul_f32_e32 v197, v46, v197                              // 000000025CB4: 0B8B8B2E
	v_mul_f32_e32 v198, v46, v198                              // 000000025CB8: 0B8D8D2E
	v_mul_f32_e32 v199, v46, v199                              // 000000025CBC: 0B8F8F2E
	s_waitcnt lgkmcnt(0)                                       // 000000025CC0: BF8CC07F
	v_max3_f32 v48, v64, v65, v48                              // 000000025CC4: D1D30030 04C28340
	v_max3_f32 v48, v66, v67, v48                              // 000000025CCC: D1D30030 04C28742
	v_max3_f32 v48, v68, v69, v48                              // 000000025CD4: D1D30030 04C28B44
	v_max3_f32 v48, v70, v71, v48                              // 000000025CDC: D1D30030 04C28F46
	v_max3_f32 v48, v72, v73, v48                              // 000000025CE4: D1D30030 04C29348
	v_max3_f32 v48, v74, v75, v48                              // 000000025CEC: D1D30030 04C2974A
	v_max3_f32 v48, v76, v77, v48                              // 000000025CF4: D1D30030 04C29B4C
	v_max3_f32 v48, v78, v79, v48                              // 000000025CFC: D1D30030 04C29F4E
	v_mov_b32_e32 v64, 0xff800000                              // 000000025D04: 7E8002FF FF800000
	v_cmp_eq_u32_e64 s[40:41], v64, v13                        // 000000025D0C: D0CA0028 00021B40
	s_nop 1                                                    // 000000025D14: BF800001
	v_max_f32_e32 v15, v48, v13                                // 000000025D18: 161E1B30
	v_mul_f32_e32 v53, s64, v15                                // 000000025D1C: 0A6A1E40
	v_fma_f32 v144, v144, s64, -v53                            // 000000025D20: D1CB0090 84D48190
	v_fma_f32 v145, v145, s64, -v53                            // 000000025D28: D1CB0091 84D48191
	v_fma_f32 v146, v146, s64, -v53                            // 000000025D30: D1CB0092 84D48192
	v_fma_f32 v147, v147, s64, -v53                            // 000000025D38: D1CB0093 84D48193
	v_fma_f32 v148, v148, s64, -v53                            // 000000025D40: D1CB0094 84D48194
	v_fma_f32 v149, v149, s64, -v53                            // 000000025D48: D1CB0095 84D48195
	v_fma_f32 v150, v150, s64, -v53                            // 000000025D50: D1CB0096 84D48196
	v_fma_f32 v151, v151, s64, -v53                            // 000000025D58: D1CB0097 84D48197
	v_fma_f32 v152, v152, s64, -v53                            // 000000025D60: D1CB0098 84D48198
	v_fma_f32 v153, v153, s64, -v53                            // 000000025D68: D1CB0099 84D48199
	v_fma_f32 v154, v154, s64, -v53                            // 000000025D70: D1CB009A 84D4819A
	v_fma_f32 v155, v155, s64, -v53                            // 000000025D78: D1CB009B 84D4819B
	v_fma_f32 v156, v156, s64, -v53                            // 000000025D80: D1CB009C 84D4819C
	v_fma_f32 v157, v157, s64, -v53                            // 000000025D88: D1CB009D 84D4819D
	v_fma_f32 v158, v158, s64, -v53                            // 000000025D90: D1CB009E 84D4819E
	v_fma_f32 v159, v159, s64, -v53                            // 000000025D98: D1CB009F 84D4819F
	v_exp_f32_e32 v144, v144                                   // 000000025DA0: 7F204190
	v_exp_f32_e32 v145, v145                                   // 000000025DA4: 7F224191
	v_exp_f32_e32 v146, v146                                   // 000000025DA8: 7F244192
	v_exp_f32_e32 v147, v147                                   // 000000025DAC: 7F264193
	v_exp_f32_e32 v148, v148                                   // 000000025DB0: 7F284194
	v_exp_f32_e32 v149, v149                                   // 000000025DB4: 7F2A4195
	v_exp_f32_e32 v150, v150                                   // 000000025DB8: 7F2C4196
	v_exp_f32_e32 v151, v151                                   // 000000025DBC: 7F2E4197
	v_exp_f32_e32 v152, v152                                   // 000000025DC0: 7F304198
	v_exp_f32_e32 v153, v153                                   // 000000025DC4: 7F324199
	v_exp_f32_e32 v154, v154                                   // 000000025DC8: 7F34419A
	v_exp_f32_e32 v155, v155                                   // 000000025DCC: 7F36419B
	v_exp_f32_e32 v156, v156                                   // 000000025DD0: 7F38419C
	v_exp_f32_e32 v157, v157                                   // 000000025DD4: 7F3A419D
	v_exp_f32_e32 v158, v158                                   // 000000025DD8: 7F3C419E
	v_exp_f32_e32 v159, v159                                   // 000000025DDC: 7F3E419F
	v_mul_f32_dpp v240, v252, v144 quad_perm:[0,0,0,0] row_mask:0xf bank_mask:0xf// 000000025DE0: 0BE120FA FF0000FC
	v_mul_f32_dpp v241, v252, v145 quad_perm:[1,1,1,1] row_mask:0xf bank_mask:0xf// 000000025DE8: 0BE322FA FF0055FC
	v_mul_f32_dpp v242, v252, v146 quad_perm:[2,2,2,2] row_mask:0xf bank_mask:0xf// 000000025DF0: 0BE524FA FF00AAFC
	v_mul_f32_dpp v243, v252, v147 quad_perm:[3,3,3,3] row_mask:0xf bank_mask:0xf// 000000025DF8: 0BE726FA FF00FFFC
	v_mul_f32_dpp v244, v253, v148 quad_perm:[0,0,0,0] row_mask:0xf bank_mask:0xf// 000000025E00: 0BE928FA FF0000FD
	v_mul_f32_dpp v245, v253, v149 quad_perm:[1,1,1,1] row_mask:0xf bank_mask:0xf// 000000025E08: 0BEB2AFA FF0055FD
	v_mul_f32_dpp v246, v253, v150 quad_perm:[2,2,2,2] row_mask:0xf bank_mask:0xf// 000000025E10: 0BED2CFA FF00AAFD
	v_mul_f32_dpp v247, v253, v151 quad_perm:[3,3,3,3] row_mask:0xf bank_mask:0xf// 000000025E18: 0BEF2EFA FF00FFFD
	v_mul_f32_dpp v248, v254, v152 quad_perm:[0,0,0,0] row_mask:0xf bank_mask:0xf// 000000025E20: 0BF130FA FF0000FE
	v_mul_f32_dpp v249, v254, v153 quad_perm:[1,1,1,1] row_mask:0xf bank_mask:0xf// 000000025E28: 0BF332FA FF0055FE
	v_mul_f32_dpp v250, v254, v154 quad_perm:[2,2,2,2] row_mask:0xf bank_mask:0xf// 000000025E30: 0BF534FA FF00AAFE
	v_mul_f32_dpp v251, v254, v155 quad_perm:[3,3,3,3] row_mask:0xf bank_mask:0xf// 000000025E38: 0BF736FA FF00FFFE
	v_mul_f32_dpp v252, v255, v156 quad_perm:[0,0,0,0] row_mask:0xf bank_mask:0xf// 000000025E40: 0BF938FA FF0000FF
	v_mul_f32_dpp v253, v255, v157 quad_perm:[1,1,1,1] row_mask:0xf bank_mask:0xf// 000000025E48: 0BFB3AFA FF0055FF
	v_mul_f32_dpp v254, v255, v158 quad_perm:[2,2,2,2] row_mask:0xf bank_mask:0xf// 000000025E50: 0BFD3CFA FF00AAFF
	v_mul_f32_dpp v255, v255, v159 quad_perm:[3,3,3,3] row_mask:0xf bank_mask:0xf// 000000025E58: 0BFF3EFA FF00FFFF
	v_mov_b32_e32 v48, 0x358637bd                              // 000000025E60: 7E6002FF 358637BD
	v_max3_f32 v48, |v240|, |v241|, v48                        // 000000025E68: D1D30330 04C3E3F0
	v_max3_f32 v48, |v242|, |v243|, v48                        // 000000025E70: D1D30330 04C3E7F2
	v_max3_f32 v48, |v244|, |v245|, v48                        // 000000025E78: D1D30330 04C3EBF4
	v_max3_f32 v48, |v246|, |v247|, v48                        // 000000025E80: D1D30330 04C3EFF6
	v_max3_f32 v48, |v248|, |v249|, v48                        // 000000025E88: D1D30330 04C3F3F8
	v_max3_f32 v48, |v250|, |v251|, v48                        // 000000025E90: D1D30330 04C3F7FA
	v_max3_f32 v48, |v252|, |v253|, v48                        // 000000025E98: D1D30330 04C3FBFC
	v_max3_f32 v48, |v254|, |v255|, v48                        // 000000025EA0: D1D30330 04C3FFFE
	ds_write_b32 v8, v48 offset:20992                          // 000000025EA8: D81A5200 00003008
	v_sub_f32_e32 v51, v13, v15                                // 000000025EB0: 04661F0D
	v_cndmask_b32_e64 v51, v51, 0, s[40:41]                    // 000000025EB4: D1000033 00A10133
	v_mov_b32_e32 v13, v15                                     // 000000025EBC: 7E1A030F
	v_mul_f32_e32 v51, s64, v51                                // 000000025EC0: 0A666640
	v_exp_f32_e32 v51, v51                                     // 000000025EC4: 7E664133
	s_waitcnt lgkmcnt(0)                                       // 000000025EC8: BF8CC07F
	s_barrier                                                  // 000000025ECC: BF8A0000
	ds_read_b32 v64, v7 offset:20992                           // 000000025ED0: D86C5200 40000007
	ds_read_b32 v65, v7 offset:21056                           // 000000025ED8: D86C5240 41000007
	ds_read_b32 v66, v7 offset:21120                           // 000000025EE0: D86C5280 42000007
	ds_read_b32 v67, v7 offset:21184                           // 000000025EE8: D86C52C0 43000007
	ds_read_b32 v68, v7 offset:21248                           // 000000025EF0: D86C5300 44000007
	ds_read_b32 v69, v7 offset:21312                           // 000000025EF8: D86C5340 45000007
	ds_read_b32 v70, v7 offset:21376                           // 000000025F00: D86C5380 46000007
	ds_read_b32 v71, v7 offset:21440                           // 000000025F08: D86C53C0 47000007
	ds_read_b32 v72, v7 offset:21504                           // 000000025F10: D86C5400 48000007
	ds_read_b32 v73, v7 offset:21568                           // 000000025F18: D86C5440 49000007
	ds_read_b32 v74, v7 offset:21632                           // 000000025F20: D86C5480 4A000007
	ds_read_b32 v75, v7 offset:21696                           // 000000025F28: D86C54C0 4B000007
	ds_read_b32 v76, v7 offset:21760                           // 000000025F30: D86C5500 4C000007
	ds_read_b32 v77, v7 offset:21824                           // 000000025F38: D86C5540 4D000007
	ds_read_b32 v78, v7 offset:21888                           // 000000025F40: D86C5580 4E000007
	ds_read_b32 v79, v7 offset:21952                           // 000000025F48: D86C55C0 4F000007
	v_mul_f32_e32 v40, v51, v40                                // 000000025F50: 0A505133
	v_mov_b32_e32 v15, v144                                    // 000000025F54: 7E1E0390
	v_add_f32_e32 v15, v145, v15                               // 000000025F58: 021E1F91
	v_add_f32_e32 v15, v146, v15                               // 000000025F5C: 021E1F92
	v_add_f32_e32 v15, v147, v15                               // 000000025F60: 021E1F93
	v_add_f32_e32 v15, v148, v15                               // 000000025F64: 021E1F94
	v_add_f32_e32 v15, v149, v15                               // 000000025F68: 021E1F95
	v_add_f32_e32 v15, v150, v15                               // 000000025F6C: 021E1F96
	v_add_f32_e32 v15, v151, v15                               // 000000025F70: 021E1F97
	v_add_f32_e32 v15, v152, v15                               // 000000025F74: 021E1F98
	v_add_f32_e32 v15, v153, v15                               // 000000025F78: 021E1F99
	v_add_f32_e32 v15, v154, v15                               // 000000025F7C: 021E1F9A
	v_add_f32_e32 v15, v155, v15                               // 000000025F80: 021E1F9B
	v_add_f32_e32 v15, v156, v15                               // 000000025F84: 021E1F9C
	v_add_f32_e32 v15, v157, v15                               // 000000025F88: 021E1F9D
	v_add_f32_e32 v15, v158, v15                               // 000000025F8C: 021E1F9E
	v_add_f32_e32 v15, v159, v15                               // 000000025F90: 021E1F9F
	v_add_f32_e32 v40, v15, v40                                // 000000025F94: 0250510F
	s_waitcnt lgkmcnt(0)                                       // 000000025F98: BF8CC07F
	v_max3_f32 v48, |v64|, |v65|, v48                          // 000000025F9C: D1D30330 04C28340
	v_max3_f32 v48, |v66|, |v67|, v48                          // 000000025FA4: D1D30330 04C28742
	v_max3_f32 v48, |v68|, |v69|, v48                          // 000000025FAC: D1D30330 04C28B44
	v_max3_f32 v48, |v70|, |v71|, v48                          // 000000025FB4: D1D30330 04C28F46
	v_max3_f32 v48, |v72|, |v73|, v48                          // 000000025FBC: D1D30330 04C29348
	v_max3_f32 v48, |v74|, |v75|, v48                          // 000000025FC4: D1D30330 04C2974A
	v_max3_f32 v48, |v76|, |v77|, v48                          // 000000025FCC: D1D30330 04C29B4C
	v_max3_f32 v48, |v78|, |v79|, v48                          // 000000025FD4: D1D30330 04C29F4E
	s_nop 2                                                    // 000000025FDC: BF800002
	v_rcp_f32_e32 v48, v48                                     // 000000025FE0: 7E604530
	s_nop 1                                                    // 000000025FE4: BF800001
	v_mul_f32_e32 v48, 0x43e00000, v48                         // 000000025FE8: 0A6060FF 43E00000
	v_mul_f32_e32 v144, v48, v240                              // 000000025FF0: 0B21E130
	v_mul_f32_e32 v145, v48, v241                              // 000000025FF4: 0B23E330
	v_mul_f32_e32 v146, v48, v242                              // 000000025FF8: 0B25E530
	v_mul_f32_e32 v147, v48, v243                              // 000000025FFC: 0B27E730
	v_mul_f32_e32 v148, v48, v244                              // 000000026000: 0B29E930
	v_mul_f32_e32 v149, v48, v245                              // 000000026004: 0B2BEB30
	v_mul_f32_e32 v150, v48, v246                              // 000000026008: 0B2DED30
	v_mul_f32_e32 v151, v48, v247                              // 00000002600C: 0B2FEF30
	v_mul_f32_e32 v152, v48, v248                              // 000000026010: 0B31F130
	v_mul_f32_e32 v153, v48, v249                              // 000000026014: 0B33F330
	v_mul_f32_e32 v154, v48, v250                              // 000000026018: 0B35F530
	v_mul_f32_e32 v155, v48, v251                              // 00000002601C: 0B37F730
	v_mul_f32_e32 v156, v48, v252                              // 000000026020: 0B39F930
	v_mul_f32_e32 v157, v48, v253                              // 000000026024: 0B3BFB30
	v_mul_f32_e32 v158, v48, v254                              // 000000026028: 0B3DFD30
	v_mul_f32_e32 v159, v48, v255                              // 00000002602C: 0B3FFF30
	v_cvt_pk_fp8_f32 v144, v144, v145                          // 000000026030: D2A20090 00032390
	v_cvt_pk_fp8_f32 v144, v146, v147 op_sel:[0,0,1]           // 000000026038: D2A24090 00032792
	v_cvt_pk_fp8_f32 v145, v148, v149                          // 000000026040: D2A20091 00032B94
	v_cvt_pk_fp8_f32 v145, v150, v151 op_sel:[0,0,1]           // 000000026048: D2A24091 00032F96
	v_cvt_pk_fp8_f32 v146, v152, v153                          // 000000026050: D2A20092 00033398
	v_cvt_pk_fp8_f32 v146, v154, v155 op_sel:[0,0,1]           // 000000026058: D2A24092 0003379A
	v_cvt_pk_fp8_f32 v147, v156, v157                          // 000000026060: D2A20093 00033B9C
	v_cvt_pk_fp8_f32 v147, v158, v159 op_sel:[0,0,1]           // 000000026068: D2A24093 00033F9E
	ds_write_b32 v10, v144 offset:33280                        // 000000026070: D81A8200 0000900A
	ds_write_b32 v10, v145 offset:34304                        // 000000026078: D81A8600 0000910A
	ds_write_b32 v10, v146 offset:35328                        // 000000026080: D81A8A00 0000920A
	ds_write_b32 v10, v147 offset:36352                        // 000000026088: D81A8E00 0000930A
	v_add_f32_e32 v224, v224, v192                             // 000000026090: 03C181E0
	v_add_f32_e32 v225, v225, v193                             // 000000026094: 03C383E1
	v_add_f32_e32 v226, v226, v194                             // 000000026098: 03C585E2
	v_add_f32_e32 v227, v227, v195                             // 00000002609C: 03C787E3
	v_add_f32_e32 v228, v228, v196                             // 0000000260A0: 03C989E4
	v_add_f32_e32 v229, v229, v197                             // 0000000260A4: 03CB8BE5
	v_add_f32_e32 v230, v230, v198                             // 0000000260A8: 03CD8DE6
	v_add_f32_e32 v231, v231, v199                             // 0000000260AC: 03CF8FE7
	v_rcp_f32_e32 v46, v48                                     // 0000000260B0: 7E5C4530
	s_waitcnt lgkmcnt(0)                                       // 0000000260B4: BF8CC07F
	s_barrier                                                  // 0000000260B8: BF8A0000
	ds_read_b64 v[144:145], v9 offset:33280                    // 0000000260BC: D8EC8200 90000009
	ds_read_b64 v[146:147], v9 offset:33408                    // 0000000260C4: D8EC8280 92000009
	ds_read_b64 v[148:149], v9 offset:34304                    // 0000000260CC: D8EC8600 94000009
	ds_read_b64 v[150:151], v9 offset:34432                    // 0000000260D4: D8EC8680 96000009
	ds_read_b64 v[152:153], v9 offset:35328                    // 0000000260DC: D8EC8A00 98000009
	ds_read_b64 v[154:155], v9 offset:35456                    // 0000000260E4: D8EC8A80 9A000009
	ds_read_b64 v[156:157], v9 offset:36352                    // 0000000260EC: D8EC8E00 9C000009
	ds_read_b64 v[158:159], v9 offset:36480                    // 0000000260F4: D8EC8E80 9E000009
	v_mov_b32_dpp v64, v43 row_shr:4 row_mask:0xf bank_mask:0xf// 0000000260FC: 7E8002FA FF01142B
	v_mov_b32_dpp v65, v43 row_shl:4 row_mask:0xf bank_mask:0xf// 000000026104: 7E8202FA FF01042B
	v_cndmask_b32_e64 v248, v43, v64, s[44:45]                 // 00000002610C: D10000F8 00B2812B
	v_cndmask_b32_e64 v249, v65, v43, s[44:45]                 // 000000026114: D10000F9 00B25741
	v_mov_b32_dpp v64, v248 row_shr:8 row_mask:0xf bank_mask:0xf// 00000002611C: 7E8002FA FF0118F8
	v_mov_b32_dpp v65, v248 row_shl:8 row_mask:0xf bank_mask:0xf// 000000026124: 7E8202FA FF0108F8
	v_mov_b32_dpp v66, v249 row_shr:8 row_mask:0xf bank_mask:0xf// 00000002612C: 7E8402FA FF0118F9
	v_mov_b32_dpp v67, v249 row_shl:8 row_mask:0xf bank_mask:0xf// 000000026134: 7E8602FA FF0108F9
	v_mov_b32_e32 v68, v248                                    // 00000002613C: 7E8803F8
	v_mov_b32_e32 v69, v249                                    // 000000026140: 7E8A03F9
	v_cndmask_b32_e64 v248, v68, v64, s[42:43]                 // 000000026144: D10000F8 00AA8144
	v_cndmask_b32_e64 v250, v68, v65, s[78:79]                 // 00000002614C: D10000FA 013A8344
	v_cndmask_b32_e64 v249, v69, v66, s[42:43]                 // 000000026154: D10000F9 00AA8545
	v_cndmask_b32_e64 v251, v69, v67, s[78:79]                 // 00000002615C: D10000FB 013A8745
	v_mov_b32_dpp v64, v58 row_shr:4 row_mask:0xf bank_mask:0xf// 000000026164: 7E8002FA FF01143A
	v_mov_b32_dpp v65, v58 row_shl:4 row_mask:0xf bank_mask:0xf// 00000002616C: 7E8202FA FF01043A
	v_cndmask_b32_e64 v252, v58, v64, s[44:45]                 // 000000026174: D10000FC 00B2813A
	v_cndmask_b32_e64 v253, v65, v58, s[44:45]                 // 00000002617C: D10000FD 00B27541
	v_mov_b32_dpp v64, v252 row_shr:8 row_mask:0xf bank_mask:0xf// 000000026184: 7E8002FA FF0118FC
	v_mov_b32_dpp v65, v252 row_shl:8 row_mask:0xf bank_mask:0xf// 00000002618C: 7E8202FA FF0108FC
	v_mov_b32_dpp v66, v253 row_shr:8 row_mask:0xf bank_mask:0xf// 000000026194: 7E8402FA FF0118FD
	v_mov_b32_dpp v67, v253 row_shl:8 row_mask:0xf bank_mask:0xf// 00000002619C: 7E8602FA FF0108FD
	v_mov_b32_e32 v68, v252                                    // 0000000261A4: 7E8803FC
	v_mov_b32_e32 v69, v253                                    // 0000000261A8: 7E8A03FD
	v_cndmask_b32_e64 v252, v68, v64, s[42:43]                 // 0000000261AC: D10000FC 00AA8144
	v_cndmask_b32_e64 v254, v68, v65, s[78:79]                 // 0000000261B4: D10000FE 013A8344
	v_cndmask_b32_e64 v253, v69, v66, s[42:43]                 // 0000000261BC: D10000FD 00AA8545
	v_cndmask_b32_e64 v255, v69, v67, s[78:79]                 // 0000000261C4: D10000FF 013A8745
	v_mul_f32_e32 v160, v21, v160                              // 0000000261CC: 0B414115
	v_mul_f32_e32 v161, v21, v161                              // 0000000261D0: 0B434315
	v_mul_f32_e32 v162, v21, v162                              // 0000000261D4: 0B454515
	v_mul_f32_e32 v163, v21, v163                              // 0000000261D8: 0B474715
	v_mul_f32_e32 v164, v21, v164                              // 0000000261DC: 0B494915
	v_mul_f32_e32 v165, v21, v165                              // 0000000261E0: 0B4B4B15
	v_mul_f32_e32 v166, v21, v166                              // 0000000261E4: 0B4D4D15
	v_mul_f32_e32 v167, v21, v167                              // 0000000261E8: 0B4F4F15
	v_mul_f32_e32 v168, v21, v168                              // 0000000261EC: 0B515115
	v_mul_f32_e32 v169, v21, v169                              // 0000000261F0: 0B535315
	v_mul_f32_e32 v170, v21, v170                              // 0000000261F4: 0B555515
	v_mul_f32_e32 v171, v21, v171                              // 0000000261F8: 0B575715
	v_mul_f32_e32 v172, v21, v172                              // 0000000261FC: 0B595915
	v_mul_f32_e32 v173, v21, v173                              // 000000026200: 0B5B5B15
	v_mul_f32_e32 v174, v21, v174                              // 000000026204: 0B5D5D15
	v_mul_f32_e32 v175, v21, v175                              // 000000026208: 0B5F5F15
	v_mul_f32_dpp v160, v248, v160 quad_perm:[0,0,0,0] row_mask:0xf bank_mask:0xf// 00000002620C: 0B4140FA FF0000F8
	v_mul_f32_dpp v161, v248, v161 quad_perm:[1,1,1,1] row_mask:0xf bank_mask:0xf// 000000026214: 0B4342FA FF0055F8
	v_mul_f32_dpp v162, v248, v162 quad_perm:[2,2,2,2] row_mask:0xf bank_mask:0xf// 00000002621C: 0B4544FA FF00AAF8
	v_mul_f32_dpp v163, v248, v163 quad_perm:[3,3,3,3] row_mask:0xf bank_mask:0xf// 000000026224: 0B4746FA FF00FFF8
	v_mul_f32_dpp v164, v249, v164 quad_perm:[0,0,0,0] row_mask:0xf bank_mask:0xf// 00000002622C: 0B4948FA FF0000F9
	v_mul_f32_dpp v165, v249, v165 quad_perm:[1,1,1,1] row_mask:0xf bank_mask:0xf// 000000026234: 0B4B4AFA FF0055F9
	v_mul_f32_dpp v166, v249, v166 quad_perm:[2,2,2,2] row_mask:0xf bank_mask:0xf// 00000002623C: 0B4D4CFA FF00AAF9
	v_mul_f32_dpp v167, v249, v167 quad_perm:[3,3,3,3] row_mask:0xf bank_mask:0xf// 000000026244: 0B4F4EFA FF00FFF9
	v_mul_f32_dpp v168, v250, v168 quad_perm:[0,0,0,0] row_mask:0xf bank_mask:0xf// 00000002624C: 0B5150FA FF0000FA
	v_mul_f32_dpp v169, v250, v169 quad_perm:[1,1,1,1] row_mask:0xf bank_mask:0xf// 000000026254: 0B5352FA FF0055FA
	v_mul_f32_dpp v170, v250, v170 quad_perm:[2,2,2,2] row_mask:0xf bank_mask:0xf// 00000002625C: 0B5554FA FF00AAFA
	v_mul_f32_dpp v171, v250, v171 quad_perm:[3,3,3,3] row_mask:0xf bank_mask:0xf// 000000026264: 0B5756FA FF00FFFA
	v_mul_f32_dpp v172, v251, v172 quad_perm:[0,0,0,0] row_mask:0xf bank_mask:0xf// 00000002626C: 0B5958FA FF0000FB
	v_mul_f32_dpp v173, v251, v173 quad_perm:[1,1,1,1] row_mask:0xf bank_mask:0xf// 000000026274: 0B5B5AFA FF0055FB
	v_mul_f32_dpp v174, v251, v174 quad_perm:[2,2,2,2] row_mask:0xf bank_mask:0xf// 00000002627C: 0B5D5CFA FF00AAFB
	v_mul_f32_dpp v175, v251, v175 quad_perm:[3,3,3,3] row_mask:0xf bank_mask:0xf// 000000026284: 0B5F5EFA FF00FFFB
	s_and_b32 s60, s72, 0xff                                   // 00000002628C: 863CFF48 000000FF
	v_mov_b32_e32 v65, s60                                     // 000000026294: 7E82023C
	v_lshrrev_b32_e32 v240, 4, v0                              // 000000026298: 21E00084
	v_mul_i32_i24_e32 v240, 4, v240                            // 00000002629C: 0DE1E084
	s_mul_i32 s60, s7, 16                                      // 0000000262A0: 923C9007
	v_add_u32_e32 v240, s60, v240                              // 0000000262A4: 69E1E03C
	v_add_u32_e32 v241, 1, v240                                // 0000000262A8: 69E3E081
	v_add_u32_e32 v242, 2, v240                                // 0000000262AC: 69E5E082
	v_add_u32_e32 v243, 3, v240                                // 0000000262B0: 69E7E083
	v_mov_b32_e32 v64, 0xff800000                              // 0000000262B4: 7E8002FF FF800000
	v_cmp_lt_u32_e64 s[40:41], v240, v65                       // 0000000262BC: D0C90028 000283F0
	v_add_u32_e32 v240, 64, v240                               // 0000000262C4: 69E1E0C0
	s_nop 0                                                    // 0000000262C8: BF800000
	v_cndmask_b32_e64 v160, v64, v160, s[40:41]                // 0000000262CC: D10000A0 00A34140
	v_cmp_lt_u32_e64 s[40:41], v241, v65                       // 0000000262D4: D0C90028 000283F1
	v_add_u32_e32 v241, 64, v241                               // 0000000262DC: 69E3E2C0
	s_nop 0                                                    // 0000000262E0: BF800000
	v_cndmask_b32_e64 v161, v64, v161, s[40:41]                // 0000000262E4: D10000A1 00A34340
	v_cmp_lt_u32_e64 s[40:41], v242, v65                       // 0000000262EC: D0C90028 000283F2
	v_add_u32_e32 v242, 64, v242                               // 0000000262F4: 69E5E4C0
	s_nop 0                                                    // 0000000262F8: BF800000
	v_cndmask_b32_e64 v162, v64, v162, s[40:41]                // 0000000262FC: D10000A2 00A34540
	v_cmp_lt_u32_e64 s[40:41], v243, v65                       // 000000026304: D0C90028 000283F3
	v_add_u32_e32 v243, 64, v243                               // 00000002630C: 69E7E6C0
	s_nop 0                                                    // 000000026310: BF800000
	v_cndmask_b32_e64 v163, v64, v163, s[40:41]                // 000000026314: D10000A3 00A34740
	v_cmp_lt_u32_e64 s[40:41], v240, v65                       // 00000002631C: D0C90028 000283F0
	v_add_u32_e32 v240, 64, v240                               // 000000026324: 69E1E0C0
	s_nop 0                                                    // 000000026328: BF800000
	v_cndmask_b32_e64 v164, v64, v164, s[40:41]                // 00000002632C: D10000A4 00A34940
	v_cmp_lt_u32_e64 s[40:41], v241, v65                       // 000000026334: D0C90028 000283F1
	v_add_u32_e32 v241, 64, v241                               // 00000002633C: 69E3E2C0
	s_nop 0                                                    // 000000026340: BF800000
	v_cndmask_b32_e64 v165, v64, v165, s[40:41]                // 000000026344: D10000A5 00A34B40
	v_cmp_lt_u32_e64 s[40:41], v242, v65                       // 00000002634C: D0C90028 000283F2
	v_add_u32_e32 v242, 64, v242                               // 000000026354: 69E5E4C0
	s_nop 0                                                    // 000000026358: BF800000
	v_cndmask_b32_e64 v166, v64, v166, s[40:41]                // 00000002635C: D10000A6 00A34D40
	v_cmp_lt_u32_e64 s[40:41], v243, v65                       // 000000026364: D0C90028 000283F3
	v_add_u32_e32 v243, 64, v243                               // 00000002636C: 69E7E6C0
	s_nop 0                                                    // 000000026370: BF800000
	v_cndmask_b32_e64 v167, v64, v167, s[40:41]                // 000000026374: D10000A7 00A34F40
	v_cmp_lt_u32_e64 s[40:41], v240, v65                       // 00000002637C: D0C90028 000283F0
	v_add_u32_e32 v240, 64, v240                               // 000000026384: 69E1E0C0
	s_nop 0                                                    // 000000026388: BF800000
	v_cndmask_b32_e64 v168, v64, v168, s[40:41]                // 00000002638C: D10000A8 00A35140
	v_cmp_lt_u32_e64 s[40:41], v241, v65                       // 000000026394: D0C90028 000283F1
	v_add_u32_e32 v241, 64, v241                               // 00000002639C: 69E3E2C0
	s_nop 0                                                    // 0000000263A0: BF800000
	v_cndmask_b32_e64 v169, v64, v169, s[40:41]                // 0000000263A4: D10000A9 00A35340
	v_cmp_lt_u32_e64 s[40:41], v242, v65                       // 0000000263AC: D0C90028 000283F2
	v_add_u32_e32 v242, 64, v242                               // 0000000263B4: 69E5E4C0
	s_nop 0                                                    // 0000000263B8: BF800000
	v_cndmask_b32_e64 v170, v64, v170, s[40:41]                // 0000000263BC: D10000AA 00A35540
	v_cmp_lt_u32_e64 s[40:41], v243, v65                       // 0000000263C4: D0C90028 000283F3
	v_add_u32_e32 v243, 64, v243                               // 0000000263CC: 69E7E6C0
	s_nop 0                                                    // 0000000263D0: BF800000
	v_cndmask_b32_e64 v171, v64, v171, s[40:41]                // 0000000263D4: D10000AB 00A35740
	v_cmp_lt_u32_e64 s[40:41], v240, v65                       // 0000000263DC: D0C90028 000283F0
	v_add_u32_e32 v240, 64, v240                               // 0000000263E4: 69E1E0C0
	s_nop 0                                                    // 0000000263E8: BF800000
	v_cndmask_b32_e64 v172, v64, v172, s[40:41]                // 0000000263EC: D10000AC 00A35940
	v_cmp_lt_u32_e64 s[40:41], v241, v65                       // 0000000263F4: D0C90028 000283F1
	v_add_u32_e32 v241, 64, v241                               // 0000000263FC: 69E3E2C0
	s_nop 0                                                    // 000000026400: BF800000
	v_cndmask_b32_e64 v173, v64, v173, s[40:41]                // 000000026404: D10000AD 00A35B40
	v_cmp_lt_u32_e64 s[40:41], v242, v65                       // 00000002640C: D0C90028 000283F2
	v_add_u32_e32 v242, 64, v242                               // 000000026414: 69E5E4C0
	s_nop 0                                                    // 000000026418: BF800000
	v_cndmask_b32_e64 v174, v64, v174, s[40:41]                // 00000002641C: D10000AE 00A35D40
	v_cmp_lt_u32_e64 s[40:41], v243, v65                       // 000000026424: D0C90028 000283F3
	v_add_u32_e32 v243, 64, v243                               // 00000002642C: 69E7E6C0
	s_nop 0                                                    // 000000026430: BF800000
	v_cndmask_b32_e64 v175, v64, v175, s[40:41]                // 000000026434: D10000AF 00A35F40
	v_mov_b32_e32 v48, v160                                    // 00000002643C: 7E6003A0
	v_max3_f32 v48, v160, v161, v48                            // 000000026440: D1D30030 04C343A0
	v_max3_f32 v48, v162, v163, v48                            // 000000026448: D1D30030 04C347A2
	v_max3_f32 v48, v164, v165, v48                            // 000000026450: D1D30030 04C34BA4
	v_max3_f32 v48, v166, v167, v48                            // 000000026458: D1D30030 04C34FA6
	v_max3_f32 v48, v168, v169, v48                            // 000000026460: D1D30030 04C353A8
	v_max3_f32 v48, v170, v171, v48                            // 000000026468: D1D30030 04C357AA
	v_max3_f32 v48, v172, v173, v48                            // 000000026470: D1D30030 04C35BAC
	v_max3_f32 v48, v174, v175, v48                            // 000000026478: D1D30030 04C35FAE
	ds_write_b32 v8, v48 offset:16896                          // 000000026480: D81A4200 00003008
	v_mul_f32_e32 v232, v52, v232                              // 000000026488: 0BD1D134
	v_mul_f32_e32 v233, v52, v233                              // 00000002648C: 0BD3D334
	v_mul_f32_e32 v234, v52, v234                              // 000000026490: 0BD5D534
	v_mul_f32_e32 v235, v52, v235                              // 000000026494: 0BD7D734
	v_mul_f32_e32 v236, v52, v236                              // 000000026498: 0BD9D934
	v_mul_f32_e32 v237, v52, v237                              // 00000002649C: 0BDBDB34
	v_mul_f32_e32 v238, v52, v238                              // 0000000264A0: 0BDDDD34
	v_mul_f32_e32 v239, v52, v239                              // 0000000264A4: 0BDFDF34
	s_waitcnt lgkmcnt(0)                                       // 0000000264A8: BF8CC07F
	s_barrier                                                  // 0000000264AC: BF8A0000
	ds_read_b32 v64, v7 offset:16896                           // 0000000264B0: D86C4200 40000007
	ds_read_b32 v65, v7 offset:16960                           // 0000000264B8: D86C4240 41000007
	ds_read_b32 v66, v7 offset:17024                           // 0000000264C0: D86C4280 42000007
	ds_read_b32 v67, v7 offset:17088                           // 0000000264C8: D86C42C0 43000007
	ds_read_b32 v68, v7 offset:17152                           // 0000000264D0: D86C4300 44000007
	ds_read_b32 v69, v7 offset:17216                           // 0000000264D8: D86C4340 45000007
	ds_read_b32 v70, v7 offset:17280                           // 0000000264E0: D86C4380 46000007
	ds_read_b32 v71, v7 offset:17344                           // 0000000264E8: D86C43C0 47000007
	ds_read_b32 v72, v7 offset:17408                           // 0000000264F0: D86C4400 48000007
	ds_read_b32 v73, v7 offset:17472                           // 0000000264F8: D86C4440 49000007
	ds_read_b32 v74, v7 offset:17536                           // 000000026500: D86C4480 4A000007
	ds_read_b32 v75, v7 offset:17600                           // 000000026508: D86C44C0 4B000007
	ds_read_b32 v76, v7 offset:17664                           // 000000026510: D86C4500 4C000007
	ds_read_b32 v77, v7 offset:17728                           // 000000026518: D86C4540 4D000007
	ds_read_b32 v78, v7 offset:17792                           // 000000026520: D86C4580 4E000007
	ds_read_b32 v79, v7 offset:17856                           // 000000026528: D86C45C0 4F000007
	v_mul_f32_e32 v200, v47, v200                              // 000000026530: 0B91912F
	v_mul_f32_e32 v201, v47, v201                              // 000000026534: 0B93932F
	v_mul_f32_e32 v202, v47, v202                              // 000000026538: 0B95952F
	v_mul_f32_e32 v203, v47, v203                              // 00000002653C: 0B97972F
	v_mul_f32_e32 v204, v47, v204                              // 000000026540: 0B99992F
	v_mul_f32_e32 v205, v47, v205                              // 000000026544: 0B9B9B2F
	v_mul_f32_e32 v206, v47, v206                              // 000000026548: 0B9D9D2F
	v_mul_f32_e32 v207, v47, v207                              // 00000002654C: 0B9F9F2F
	s_waitcnt lgkmcnt(0)                                       // 000000026550: BF8CC07F
	v_max3_f32 v48, v64, v65, v48                              // 000000026554: D1D30030 04C28340
	v_max3_f32 v48, v66, v67, v48                              // 00000002655C: D1D30030 04C28742
	v_max3_f32 v48, v68, v69, v48                              // 000000026564: D1D30030 04C28B44
	v_max3_f32 v48, v70, v71, v48                              // 00000002656C: D1D30030 04C28F46
	v_max3_f32 v48, v72, v73, v48                              // 000000026574: D1D30030 04C29348
	v_max3_f32 v48, v74, v75, v48                              // 00000002657C: D1D30030 04C2974A
	v_max3_f32 v48, v76, v77, v48                              // 000000026584: D1D30030 04C29B4C
	v_max3_f32 v48, v78, v79, v48                              // 00000002658C: D1D30030 04C29F4E
	v_mov_b32_e32 v64, 0xff800000                              // 000000026594: 7E8002FF FF800000
	v_cmp_eq_u32_e64 s[40:41], v64, v14                        // 00000002659C: D0CA0028 00021D40
	s_nop 1                                                    // 0000000265A4: BF800001
	v_max_f32_e32 v15, v48, v14                                // 0000000265A8: 161E1D30
	v_mul_f32_e32 v53, s64, v15                                // 0000000265AC: 0A6A1E40
	v_fma_f32 v160, v160, s64, -v53                            // 0000000265B0: D1CB00A0 84D481A0
	v_fma_f32 v161, v161, s64, -v53                            // 0000000265B8: D1CB00A1 84D481A1
	v_fma_f32 v162, v162, s64, -v53                            // 0000000265C0: D1CB00A2 84D481A2
	v_fma_f32 v163, v163, s64, -v53                            // 0000000265C8: D1CB00A3 84D481A3
	v_fma_f32 v164, v164, s64, -v53                            // 0000000265D0: D1CB00A4 84D481A4
	v_fma_f32 v165, v165, s64, -v53                            // 0000000265D8: D1CB00A5 84D481A5
	v_fma_f32 v166, v166, s64, -v53                            // 0000000265E0: D1CB00A6 84D481A6
	v_fma_f32 v167, v167, s64, -v53                            // 0000000265E8: D1CB00A7 84D481A7
	v_fma_f32 v168, v168, s64, -v53                            // 0000000265F0: D1CB00A8 84D481A8
	v_fma_f32 v169, v169, s64, -v53                            // 0000000265F8: D1CB00A9 84D481A9
	v_fma_f32 v170, v170, s64, -v53                            // 000000026600: D1CB00AA 84D481AA
	v_fma_f32 v171, v171, s64, -v53                            // 000000026608: D1CB00AB 84D481AB
	v_fma_f32 v172, v172, s64, -v53                            // 000000026610: D1CB00AC 84D481AC
	v_fma_f32 v173, v173, s64, -v53                            // 000000026618: D1CB00AD 84D481AD
	v_fma_f32 v174, v174, s64, -v53                            // 000000026620: D1CB00AE 84D481AE
	v_fma_f32 v175, v175, s64, -v53                            // 000000026628: D1CB00AF 84D481AF
	v_exp_f32_e32 v160, v160                                   // 000000026630: 7F4041A0
	v_exp_f32_e32 v161, v161                                   // 000000026634: 7F4241A1
	v_exp_f32_e32 v162, v162                                   // 000000026638: 7F4441A2
	v_exp_f32_e32 v163, v163                                   // 00000002663C: 7F4641A3
	v_exp_f32_e32 v164, v164                                   // 000000026640: 7F4841A4
	v_exp_f32_e32 v165, v165                                   // 000000026644: 7F4A41A5
	v_exp_f32_e32 v166, v166                                   // 000000026648: 7F4C41A6
	v_exp_f32_e32 v167, v167                                   // 00000002664C: 7F4E41A7
	v_exp_f32_e32 v168, v168                                   // 000000026650: 7F5041A8
	v_exp_f32_e32 v169, v169                                   // 000000026654: 7F5241A9
	v_exp_f32_e32 v170, v170                                   // 000000026658: 7F5441AA
	v_exp_f32_e32 v171, v171                                   // 00000002665C: 7F5641AB
	v_exp_f32_e32 v172, v172                                   // 000000026660: 7F5841AC
	v_exp_f32_e32 v173, v173                                   // 000000026664: 7F5A41AD
	v_exp_f32_e32 v174, v174                                   // 000000026668: 7F5C41AE
	v_exp_f32_e32 v175, v175                                   // 00000002666C: 7F5E41AF
	v_mul_f32_dpp v240, v252, v160 quad_perm:[0,0,0,0] row_mask:0xf bank_mask:0xf// 000000026670: 0BE140FA FF0000FC
	v_mul_f32_dpp v241, v252, v161 quad_perm:[1,1,1,1] row_mask:0xf bank_mask:0xf// 000000026678: 0BE342FA FF0055FC
	v_mul_f32_dpp v242, v252, v162 quad_perm:[2,2,2,2] row_mask:0xf bank_mask:0xf// 000000026680: 0BE544FA FF00AAFC
	v_mul_f32_dpp v243, v252, v163 quad_perm:[3,3,3,3] row_mask:0xf bank_mask:0xf// 000000026688: 0BE746FA FF00FFFC
	v_mul_f32_dpp v244, v253, v164 quad_perm:[0,0,0,0] row_mask:0xf bank_mask:0xf// 000000026690: 0BE948FA FF0000FD
	v_mul_f32_dpp v245, v253, v165 quad_perm:[1,1,1,1] row_mask:0xf bank_mask:0xf// 000000026698: 0BEB4AFA FF0055FD
	v_mul_f32_dpp v246, v253, v166 quad_perm:[2,2,2,2] row_mask:0xf bank_mask:0xf// 0000000266A0: 0BED4CFA FF00AAFD
	v_mul_f32_dpp v247, v253, v167 quad_perm:[3,3,3,3] row_mask:0xf bank_mask:0xf// 0000000266A8: 0BEF4EFA FF00FFFD
	v_mul_f32_dpp v248, v254, v168 quad_perm:[0,0,0,0] row_mask:0xf bank_mask:0xf// 0000000266B0: 0BF150FA FF0000FE
	v_mul_f32_dpp v249, v254, v169 quad_perm:[1,1,1,1] row_mask:0xf bank_mask:0xf// 0000000266B8: 0BF352FA FF0055FE
	v_mul_f32_dpp v250, v254, v170 quad_perm:[2,2,2,2] row_mask:0xf bank_mask:0xf// 0000000266C0: 0BF554FA FF00AAFE
	v_mul_f32_dpp v251, v254, v171 quad_perm:[3,3,3,3] row_mask:0xf bank_mask:0xf// 0000000266C8: 0BF756FA FF00FFFE
	v_mul_f32_dpp v252, v255, v172 quad_perm:[0,0,0,0] row_mask:0xf bank_mask:0xf// 0000000266D0: 0BF958FA FF0000FF
	v_mul_f32_dpp v253, v255, v173 quad_perm:[1,1,1,1] row_mask:0xf bank_mask:0xf// 0000000266D8: 0BFB5AFA FF0055FF
	v_mul_f32_dpp v254, v255, v174 quad_perm:[2,2,2,2] row_mask:0xf bank_mask:0xf// 0000000266E0: 0BFD5CFA FF00AAFF
	v_mul_f32_dpp v255, v255, v175 quad_perm:[3,3,3,3] row_mask:0xf bank_mask:0xf// 0000000266E8: 0BFF5EFA FF00FFFF
	v_mov_b32_e32 v48, 0x358637bd                              // 0000000266F0: 7E6002FF 358637BD
	v_max3_f32 v48, |v240|, |v241|, v48                        // 0000000266F8: D1D30330 04C3E3F0
	v_max3_f32 v48, |v242|, |v243|, v48                        // 000000026700: D1D30330 04C3E7F2
	v_max3_f32 v48, |v244|, |v245|, v48                        // 000000026708: D1D30330 04C3EBF4
	v_max3_f32 v48, |v246|, |v247|, v48                        // 000000026710: D1D30330 04C3EFF6
	v_max3_f32 v48, |v248|, |v249|, v48                        // 000000026718: D1D30330 04C3F3F8
	v_max3_f32 v48, |v250|, |v251|, v48                        // 000000026720: D1D30330 04C3F7FA
	v_max3_f32 v48, |v252|, |v253|, v48                        // 000000026728: D1D30330 04C3FBFC
	v_max3_f32 v48, |v254|, |v255|, v48                        // 000000026730: D1D30330 04C3FFFE
	ds_write_b32 v8, v48 offset:20992                          // 000000026738: D81A5200 00003008
	v_sub_f32_e32 v52, v14, v15                                // 000000026740: 04681F0E
	v_cndmask_b32_e64 v52, v52, 0, s[40:41]                    // 000000026744: D1000034 00A10134
	v_mov_b32_e32 v14, v15                                     // 00000002674C: 7E1C030F
	v_mul_f32_e32 v52, s64, v52                                // 000000026750: 0A686840
	v_exp_f32_e32 v52, v52                                     // 000000026754: 7E684134
	s_waitcnt lgkmcnt(0)                                       // 000000026758: BF8CC07F
	s_barrier                                                  // 00000002675C: BF8A0000
	ds_read_b32 v64, v7 offset:20992                           // 000000026760: D86C5200 40000007
	ds_read_b32 v65, v7 offset:21056                           // 000000026768: D86C5240 41000007
	ds_read_b32 v66, v7 offset:21120                           // 000000026770: D86C5280 42000007
	ds_read_b32 v67, v7 offset:21184                           // 000000026778: D86C52C0 43000007
	ds_read_b32 v68, v7 offset:21248                           // 000000026780: D86C5300 44000007
	ds_read_b32 v69, v7 offset:21312                           // 000000026788: D86C5340 45000007
	ds_read_b32 v70, v7 offset:21376                           // 000000026790: D86C5380 46000007
	ds_read_b32 v71, v7 offset:21440                           // 000000026798: D86C53C0 47000007
	ds_read_b32 v72, v7 offset:21504                           // 0000000267A0: D86C5400 48000007
	ds_read_b32 v73, v7 offset:21568                           // 0000000267A8: D86C5440 49000007
	ds_read_b32 v74, v7 offset:21632                           // 0000000267B0: D86C5480 4A000007
	ds_read_b32 v75, v7 offset:21696                           // 0000000267B8: D86C54C0 4B000007
	ds_read_b32 v76, v7 offset:21760                           // 0000000267C0: D86C5500 4C000007
	ds_read_b32 v77, v7 offset:21824                           // 0000000267C8: D86C5540 4D000007
	ds_read_b32 v78, v7 offset:21888                           // 0000000267D0: D86C5580 4E000007
	ds_read_b32 v79, v7 offset:21952                           // 0000000267D8: D86C55C0 4F000007
	v_mul_f32_e32 v41, v52, v41                                // 0000000267E0: 0A525334
	v_mov_b32_e32 v15, v160                                    // 0000000267E4: 7E1E03A0
	v_add_f32_e32 v15, v161, v15                               // 0000000267E8: 021E1FA1
	v_add_f32_e32 v15, v162, v15                               // 0000000267EC: 021E1FA2
	v_add_f32_e32 v15, v163, v15                               // 0000000267F0: 021E1FA3
	v_add_f32_e32 v15, v164, v15                               // 0000000267F4: 021E1FA4
	v_add_f32_e32 v15, v165, v15                               // 0000000267F8: 021E1FA5
	v_add_f32_e32 v15, v166, v15                               // 0000000267FC: 021E1FA6
	v_add_f32_e32 v15, v167, v15                               // 000000026800: 021E1FA7
	v_add_f32_e32 v15, v168, v15                               // 000000026804: 021E1FA8
	v_add_f32_e32 v15, v169, v15                               // 000000026808: 021E1FA9
	v_add_f32_e32 v15, v170, v15                               // 00000002680C: 021E1FAA
	v_add_f32_e32 v15, v171, v15                               // 000000026810: 021E1FAB
	v_add_f32_e32 v15, v172, v15                               // 000000026814: 021E1FAC
	v_add_f32_e32 v15, v173, v15                               // 000000026818: 021E1FAD
	v_add_f32_e32 v15, v174, v15                               // 00000002681C: 021E1FAE
	v_add_f32_e32 v15, v175, v15                               // 000000026820: 021E1FAF
	v_add_f32_e32 v41, v15, v41                                // 000000026824: 0252530F
	s_waitcnt lgkmcnt(0)                                       // 000000026828: BF8CC07F
	v_max3_f32 v48, |v64|, |v65|, v48                          // 00000002682C: D1D30330 04C28340
	v_max3_f32 v48, |v66|, |v67|, v48                          // 000000026834: D1D30330 04C28742
	v_max3_f32 v48, |v68|, |v69|, v48                          // 00000002683C: D1D30330 04C28B44
	v_max3_f32 v48, |v70|, |v71|, v48                          // 000000026844: D1D30330 04C28F46
	v_max3_f32 v48, |v72|, |v73|, v48                          // 00000002684C: D1D30330 04C29348
	v_max3_f32 v48, |v74|, |v75|, v48                          // 000000026854: D1D30330 04C2974A
	v_max3_f32 v48, |v76|, |v77|, v48                          // 00000002685C: D1D30330 04C29B4C
	v_max3_f32 v48, |v78|, |v79|, v48                          // 000000026864: D1D30330 04C29F4E
	s_nop 2                                                    // 00000002686C: BF800002
	v_rcp_f32_e32 v48, v48                                     // 000000026870: 7E604530
	s_nop 1                                                    // 000000026874: BF800001
	v_mul_f32_e32 v48, 0x43e00000, v48                         // 000000026878: 0A6060FF 43E00000
	v_mul_f32_e32 v160, v48, v240                              // 000000026880: 0B41E130
	v_mul_f32_e32 v161, v48, v241                              // 000000026884: 0B43E330
	v_mul_f32_e32 v162, v48, v242                              // 000000026888: 0B45E530
	v_mul_f32_e32 v163, v48, v243                              // 00000002688C: 0B47E730
	v_mul_f32_e32 v164, v48, v244                              // 000000026890: 0B49E930
	v_mul_f32_e32 v165, v48, v245                              // 000000026894: 0B4BEB30
	v_mul_f32_e32 v166, v48, v246                              // 000000026898: 0B4DED30
	v_mul_f32_e32 v167, v48, v247                              // 00000002689C: 0B4FEF30
	v_mul_f32_e32 v168, v48, v248                              // 0000000268A0: 0B51F130
	v_mul_f32_e32 v169, v48, v249                              // 0000000268A4: 0B53F330
	v_mul_f32_e32 v170, v48, v250                              // 0000000268A8: 0B55F530
	v_mul_f32_e32 v171, v48, v251                              // 0000000268AC: 0B57F730
	v_mul_f32_e32 v172, v48, v252                              // 0000000268B0: 0B59F930
	v_mul_f32_e32 v173, v48, v253                              // 0000000268B4: 0B5BFB30
	v_mul_f32_e32 v174, v48, v254                              // 0000000268B8: 0B5DFD30
	v_mul_f32_e32 v175, v48, v255                              // 0000000268BC: 0B5FFF30
	v_cvt_pk_fp8_f32 v160, v160, v161                          // 0000000268C0: D2A200A0 000343A0
	v_cvt_pk_fp8_f32 v160, v162, v163 op_sel:[0,0,1]           // 0000000268C8: D2A240A0 000347A2
	v_cvt_pk_fp8_f32 v161, v164, v165                          // 0000000268D0: D2A200A1 00034BA4
	v_cvt_pk_fp8_f32 v161, v166, v167 op_sel:[0,0,1]           // 0000000268D8: D2A240A1 00034FA6
	v_cvt_pk_fp8_f32 v162, v168, v169                          // 0000000268E0: D2A200A2 000353A8
	v_cvt_pk_fp8_f32 v162, v170, v171 op_sel:[0,0,1]           // 0000000268E8: D2A240A2 000357AA
	v_cvt_pk_fp8_f32 v163, v172, v173                          // 0000000268F0: D2A200A3 00035BAC
	v_cvt_pk_fp8_f32 v163, v174, v175 op_sel:[0,0,1]           // 0000000268F8: D2A240A3 00035FAE
	ds_write_b32 v10, v160 offset:37376                        // 000000026900: D81A9200 0000A00A
	ds_write_b32 v10, v161 offset:38400                        // 000000026908: D81A9600 0000A10A
	ds_write_b32 v10, v162 offset:39424                        // 000000026910: D81A9A00 0000A20A
	ds_write_b32 v10, v163 offset:40448                        // 000000026918: D81A9E00 0000A30A
	v_add_f32_e32 v232, v232, v200                             // 000000026920: 03D191E8
	v_add_f32_e32 v233, v233, v201                             // 000000026924: 03D393E9
	v_add_f32_e32 v234, v234, v202                             // 000000026928: 03D595EA
	v_add_f32_e32 v235, v235, v203                             // 00000002692C: 03D797EB
	v_add_f32_e32 v236, v236, v204                             // 000000026930: 03D999EC
	v_add_f32_e32 v237, v237, v205                             // 000000026934: 03DB9BED
	v_add_f32_e32 v238, v238, v206                             // 000000026938: 03DD9DEE
	v_add_f32_e32 v239, v239, v207                             // 00000002693C: 03DF9FEF
	v_rcp_f32_e32 v47, v48                                     // 000000026940: 7E5E4530
	s_waitcnt lgkmcnt(0)                                       // 000000026944: BF8CC07F
	s_barrier                                                  // 000000026948: BF8A0000
	ds_read_b64 v[160:161], v9 offset:37376                    // 00000002694C: D8EC9200 A0000009
	ds_read_b64 v[162:163], v9 offset:37504                    // 000000026954: D8EC9280 A2000009
	ds_read_b64 v[164:165], v9 offset:38400                    // 00000002695C: D8EC9600 A4000009
	ds_read_b64 v[166:167], v9 offset:38528                    // 000000026964: D8EC9680 A6000009
	ds_read_b64 v[168:169], v9 offset:39424                    // 00000002696C: D8EC9A00 A8000009
	ds_read_b64 v[170:171], v9 offset:39552                    // 000000026974: D8EC9A80 AA000009
	ds_read_b64 v[172:173], v9 offset:40448                    // 00000002697C: D8EC9E00 AC000009
	ds_read_b64 v[174:175], v9 offset:40576                    // 000000026984: D8EC9E80 AE000009
	s_waitcnt vmcnt(0)                                         // 00000002698C: BF8C0F70
	s_barrier                                                  // 000000026990: BF8A0000
	v_mfma_f32_16x16x32_fp8_fp8 v[176:179], a[96:97], v[112:113], 0// 000000026994: D3F300B0 0A02E160
	v_mfma_f32_16x16x32_fp8_fp8 v[176:179], a[98:99], v[114:115], v[176:179]// 00000002699C: D3F300B0 0EC2E562
	v_mfma_f32_16x16x32_fp8_fp8 v[176:179], a[100:101], v[116:117], v[176:179]// 0000000269A4: D3F300B0 0EC2E964
	v_mfma_f32_16x16x32_fp8_fp8 v[176:179], a[102:103], v[118:119], v[176:179]// 0000000269AC: D3F300B0 0EC2ED66
	v_mfma_f32_16x16x32_fp8_fp8 v[176:179], a[104:105], v[120:121], v[176:179]// 0000000269B4: D3F300B0 0EC2F168
	v_mfma_f32_16x16x32_fp8_fp8 v[176:179], a[106:107], v[122:123], v[176:179]// 0000000269BC: D3F300B0 0EC2F56A
	v_mfma_f32_16x16x32_fp8_fp8 v[176:179], a[108:109], v[124:125], v[176:179]// 0000000269C4: D3F300B0 0EC2F96C
	v_mfma_f32_16x16x32_fp8_fp8 v[176:179], a[110:111], v[126:127], v[176:179]// 0000000269CC: D3F300B0 0EC2FD6E
	v_mfma_f32_16x16x32_fp8_fp8 v[180:183], a[112:113], v[112:113], 0// 0000000269D4: D3F300B4 0A02E170
	v_mfma_f32_16x16x32_fp8_fp8 v[180:183], a[114:115], v[114:115], v[180:183]// 0000000269DC: D3F300B4 0ED2E572
	v_mfma_f32_16x16x32_fp8_fp8 v[180:183], a[116:117], v[116:117], v[180:183]// 0000000269E4: D3F300B4 0ED2E974
	v_mfma_f32_16x16x32_fp8_fp8 v[180:183], a[118:119], v[118:119], v[180:183]// 0000000269EC: D3F300B4 0ED2ED76
	v_mfma_f32_16x16x32_fp8_fp8 v[180:183], a[120:121], v[120:121], v[180:183]// 0000000269F4: D3F300B4 0ED2F178
	v_mfma_f32_16x16x32_fp8_fp8 v[180:183], a[122:123], v[122:123], v[180:183]// 0000000269FC: D3F300B4 0ED2F57A
	v_mfma_f32_16x16x32_fp8_fp8 v[180:183], a[124:125], v[124:125], v[180:183]// 000000026A04: D3F300B4 0ED2F97C
	v_mfma_f32_16x16x32_fp8_fp8 v[180:183], a[126:127], v[126:127], v[180:183]// 000000026A0C: D3F300B4 0ED2FD7E
	v_mfma_f32_16x16x32_fp8_fp8 v[184:187], a[96:97], v[128:129], 0// 000000026A14: D3F300B8 0A030160
	v_mfma_f32_16x16x32_fp8_fp8 v[184:187], a[98:99], v[130:131], v[184:187]// 000000026A1C: D3F300B8 0EE30562
	v_mfma_f32_16x16x32_fp8_fp8 v[184:187], a[100:101], v[132:133], v[184:187]// 000000026A24: D3F300B8 0EE30964
	v_mfma_f32_16x16x32_fp8_fp8 v[184:187], a[102:103], v[134:135], v[184:187]// 000000026A2C: D3F300B8 0EE30D66
	v_mfma_f32_16x16x32_fp8_fp8 v[184:187], a[104:105], v[136:137], v[184:187]// 000000026A34: D3F300B8 0EE31168
	v_mfma_f32_16x16x32_fp8_fp8 v[184:187], a[106:107], v[138:139], v[184:187]// 000000026A3C: D3F300B8 0EE3156A
	v_mfma_f32_16x16x32_fp8_fp8 v[184:187], a[108:109], v[140:141], v[184:187]// 000000026A44: D3F300B8 0EE3196C
	v_mfma_f32_16x16x32_fp8_fp8 v[184:187], a[110:111], v[142:143], v[184:187]// 000000026A4C: D3F300B8 0EE31D6E
	v_mfma_f32_16x16x32_fp8_fp8 v[188:191], a[112:113], v[128:129], 0// 000000026A54: D3F300BC 0A030170
	v_mfma_f32_16x16x32_fp8_fp8 v[188:191], a[114:115], v[130:131], v[188:191]// 000000026A5C: D3F300BC 0EF30572
	v_mfma_f32_16x16x32_fp8_fp8 v[188:191], a[116:117], v[132:133], v[188:191]// 000000026A64: D3F300BC 0EF30974
	v_mfma_f32_16x16x32_fp8_fp8 v[188:191], a[118:119], v[134:135], v[188:191]// 000000026A6C: D3F300BC 0EF30D76
	v_mfma_f32_16x16x32_fp8_fp8 v[188:191], a[120:121], v[136:137], v[188:191]// 000000026A74: D3F300BC 0EF31178
	v_mfma_f32_16x16x32_fp8_fp8 v[188:191], a[122:123], v[138:139], v[188:191]// 000000026A7C: D3F300BC 0EF3157A
	v_mfma_f32_16x16x32_fp8_fp8 v[188:191], a[124:125], v[140:141], v[188:191]// 000000026A84: D3F300BC 0EF3197C
	v_mfma_f32_16x16x32_fp8_fp8 v[188:191], a[126:127], v[142:143], v[188:191]// 000000026A8C: D3F300BC 0EF31D7E
	v_mfma_f32_16x16x32_fp8_fp8 v[192:195], a[96:97], v[144:145], 0// 000000026A94: D3F300C0 0A032160
	v_mfma_f32_16x16x32_fp8_fp8 v[192:195], a[98:99], v[146:147], v[192:195]// 000000026A9C: D3F300C0 0F032562
	v_mfma_f32_16x16x32_fp8_fp8 v[192:195], a[100:101], v[148:149], v[192:195]// 000000026AA4: D3F300C0 0F032964
	v_mfma_f32_16x16x32_fp8_fp8 v[192:195], a[102:103], v[150:151], v[192:195]// 000000026AAC: D3F300C0 0F032D66
	v_mfma_f32_16x16x32_fp8_fp8 v[192:195], a[104:105], v[152:153], v[192:195]// 000000026AB4: D3F300C0 0F033168
	v_mfma_f32_16x16x32_fp8_fp8 v[192:195], a[106:107], v[154:155], v[192:195]// 000000026ABC: D3F300C0 0F03356A
	v_mfma_f32_16x16x32_fp8_fp8 v[192:195], a[108:109], v[156:157], v[192:195]// 000000026AC4: D3F300C0 0F03396C
	v_mfma_f32_16x16x32_fp8_fp8 v[192:195], a[110:111], v[158:159], v[192:195]// 000000026ACC: D3F300C0 0F033D6E
	v_mfma_f32_16x16x32_fp8_fp8 v[196:199], a[112:113], v[144:145], 0// 000000026AD4: D3F300C4 0A032170
	v_mfma_f32_16x16x32_fp8_fp8 v[196:199], a[114:115], v[146:147], v[196:199]// 000000026ADC: D3F300C4 0F132572
	v_mfma_f32_16x16x32_fp8_fp8 v[196:199], a[116:117], v[148:149], v[196:199]// 000000026AE4: D3F300C4 0F132974
	v_mfma_f32_16x16x32_fp8_fp8 v[196:199], a[118:119], v[150:151], v[196:199]// 000000026AEC: D3F300C4 0F132D76
	v_mfma_f32_16x16x32_fp8_fp8 v[196:199], a[120:121], v[152:153], v[196:199]// 000000026AF4: D3F300C4 0F133178
	v_mfma_f32_16x16x32_fp8_fp8 v[196:199], a[122:123], v[154:155], v[196:199]// 000000026AFC: D3F300C4 0F13357A
	v_mfma_f32_16x16x32_fp8_fp8 v[196:199], a[124:125], v[156:157], v[196:199]// 000000026B04: D3F300C4 0F13397C
	v_mfma_f32_16x16x32_fp8_fp8 v[196:199], a[126:127], v[158:159], v[196:199]// 000000026B0C: D3F300C4 0F133D7E
	v_mfma_f32_16x16x32_fp8_fp8 v[200:203], a[96:97], v[160:161], 0// 000000026B14: D3F300C8 0A034160
	v_mfma_f32_16x16x32_fp8_fp8 v[200:203], a[98:99], v[162:163], v[200:203]// 000000026B1C: D3F300C8 0F234562
	v_mfma_f32_16x16x32_fp8_fp8 v[200:203], a[100:101], v[164:165], v[200:203]// 000000026B24: D3F300C8 0F234964
	v_mfma_f32_16x16x32_fp8_fp8 v[200:203], a[102:103], v[166:167], v[200:203]// 000000026B2C: D3F300C8 0F234D66
	v_mfma_f32_16x16x32_fp8_fp8 v[200:203], a[104:105], v[168:169], v[200:203]// 000000026B34: D3F300C8 0F235168
	v_mfma_f32_16x16x32_fp8_fp8 v[200:203], a[106:107], v[170:171], v[200:203]// 000000026B3C: D3F300C8 0F23556A
	v_mfma_f32_16x16x32_fp8_fp8 v[200:203], a[108:109], v[172:173], v[200:203]// 000000026B44: D3F300C8 0F23596C
	v_mfma_f32_16x16x32_fp8_fp8 v[200:203], a[110:111], v[174:175], v[200:203]// 000000026B4C: D3F300C8 0F235D6E
	v_mfma_f32_16x16x32_fp8_fp8 v[204:207], a[112:113], v[160:161], 0// 000000026B54: D3F300CC 0A034170
	v_mfma_f32_16x16x32_fp8_fp8 v[204:207], a[114:115], v[162:163], v[204:207]// 000000026B5C: D3F300CC 0F334572
	v_mfma_f32_16x16x32_fp8_fp8 v[204:207], a[116:117], v[164:165], v[204:207]// 000000026B64: D3F300CC 0F334974
	v_mfma_f32_16x16x32_fp8_fp8 v[204:207], a[118:119], v[166:167], v[204:207]// 000000026B6C: D3F300CC 0F334D76
	v_mfma_f32_16x16x32_fp8_fp8 v[204:207], a[120:121], v[168:169], v[204:207]// 000000026B74: D3F300CC 0F335178
	v_mfma_f32_16x16x32_fp8_fp8 v[204:207], a[122:123], v[170:171], v[204:207]// 000000026B7C: D3F300CC 0F33557A
	v_mfma_f32_16x16x32_fp8_fp8 v[204:207], a[124:125], v[172:173], v[204:207]// 000000026B84: D3F300CC 0F33597C
	v_mfma_f32_16x16x32_fp8_fp8 v[204:207], a[126:127], v[174:175], v[204:207]// 000000026B8C: D3F300CC 0F335D7E
	s_nop 4                                                    // 000000026B94: BF800004
	s_branch label_9267                                        // 000000026B98: BF820000

0000000000026b9c <label_9267>:
	v_mul_f32_e32 v208, v49, v208                              // 000000026B9C: 0BA1A131
	v_mul_f32_e32 v209, v49, v209                              // 000000026BA0: 0BA3A331
	v_mul_f32_e32 v210, v49, v210                              // 000000026BA4: 0BA5A531
	v_mul_f32_e32 v211, v49, v211                              // 000000026BA8: 0BA7A731
	v_mul_f32_e32 v212, v49, v212                              // 000000026BAC: 0BA9A931
	v_mul_f32_e32 v213, v49, v213                              // 000000026BB0: 0BABAB31
	v_mul_f32_e32 v214, v49, v214                              // 000000026BB4: 0BADAD31
	v_mul_f32_e32 v215, v49, v215                              // 000000026BB8: 0BAFAF31
	v_mul_f32_e32 v176, v44, v176                              // 000000026BBC: 0B61612C
	v_mul_f32_e32 v177, v44, v177                              // 000000026BC0: 0B63632C
	v_mul_f32_e32 v178, v44, v178                              // 000000026BC4: 0B65652C
	v_mul_f32_e32 v179, v44, v179                              // 000000026BC8: 0B67672C
	v_mul_f32_e32 v180, v44, v180                              // 000000026BCC: 0B69692C
	v_mul_f32_e32 v181, v44, v181                              // 000000026BD0: 0B6B6B2C
	v_mul_f32_e32 v182, v44, v182                              // 000000026BD4: 0B6D6D2C
	v_mul_f32_e32 v183, v44, v183                              // 000000026BD8: 0B6F6F2C
	v_add_f32_e32 v208, v208, v176                             // 000000026BDC: 03A161D0
	v_add_f32_e32 v209, v209, v177                             // 000000026BE0: 03A363D1
	v_add_f32_e32 v210, v210, v178                             // 000000026BE4: 03A565D2
	v_add_f32_e32 v211, v211, v179                             // 000000026BE8: 03A767D3
	v_add_f32_e32 v212, v212, v180                             // 000000026BEC: 03A969D4
	v_add_f32_e32 v213, v213, v181                             // 000000026BF0: 03AB6BD5
	v_add_f32_e32 v214, v214, v182                             // 000000026BF4: 03AD6DD6
	v_add_f32_e32 v215, v215, v183                             // 000000026BF8: 03AF6FD7
	ds_write_b32 v8, v38 offset:16896                          // 000000026BFC: D81A4200 00002608
	s_waitcnt lgkmcnt(0)                                       // 000000026C04: BF8CC07F
	s_barrier                                                  // 000000026C08: BF8A0000
	ds_read_b32 v64, v7 offset:16896                           // 000000026C0C: D86C4200 40000007
	ds_read_b32 v65, v7 offset:16960                           // 000000026C14: D86C4240 41000007
	ds_read_b32 v66, v7 offset:17024                           // 000000026C1C: D86C4280 42000007
	ds_read_b32 v67, v7 offset:17088                           // 000000026C24: D86C42C0 43000007
	ds_read_b32 v68, v7 offset:17152                           // 000000026C2C: D86C4300 44000007
	ds_read_b32 v69, v7 offset:17216                           // 000000026C34: D86C4340 45000007
	ds_read_b32 v70, v7 offset:17280                           // 000000026C3C: D86C4380 46000007
	ds_read_b32 v71, v7 offset:17344                           // 000000026C44: D86C43C0 47000007
	ds_read_b32 v72, v7 offset:17408                           // 000000026C4C: D86C4400 48000007
	ds_read_b32 v73, v7 offset:17472                           // 000000026C54: D86C4440 49000007
	ds_read_b32 v74, v7 offset:17536                           // 000000026C5C: D86C4480 4A000007
	ds_read_b32 v75, v7 offset:17600                           // 000000026C64: D86C44C0 4B000007
	ds_read_b32 v76, v7 offset:17664                           // 000000026C6C: D86C4500 4C000007
	ds_read_b32 v77, v7 offset:17728                           // 000000026C74: D86C4540 4D000007
	ds_read_b32 v78, v7 offset:17792                           // 000000026C7C: D86C4580 4E000007
	ds_read_b32 v79, v7 offset:17856                           // 000000026C84: D86C45C0 4F000007
	s_waitcnt lgkmcnt(0)                                       // 000000026C8C: BF8CC07F
	v_mov_b32_e32 v38, 0                                       // 000000026C90: 7E4C0280
	v_add_f32_e32 v38, v64, v38                                // 000000026C94: 024C4D40
	v_add_f32_e32 v38, v65, v38                                // 000000026C98: 024C4D41
	v_add_f32_e32 v38, v66, v38                                // 000000026C9C: 024C4D42
	v_add_f32_e32 v38, v67, v38                                // 000000026CA0: 024C4D43
	v_add_f32_e32 v38, v68, v38                                // 000000026CA4: 024C4D44
	v_add_f32_e32 v38, v69, v38                                // 000000026CA8: 024C4D45
	v_add_f32_e32 v38, v70, v38                                // 000000026CAC: 024C4D46
	v_add_f32_e32 v38, v71, v38                                // 000000026CB0: 024C4D47
	v_add_f32_e32 v38, v72, v38                                // 000000026CB4: 024C4D48
	v_add_f32_e32 v38, v73, v38                                // 000000026CB8: 024C4D49
	v_add_f32_e32 v38, v74, v38                                // 000000026CBC: 024C4D4A
	v_add_f32_e32 v38, v75, v38                                // 000000026CC0: 024C4D4B
	v_add_f32_e32 v38, v76, v38                                // 000000026CC4: 024C4D4C
	v_add_f32_e32 v38, v77, v38                                // 000000026CC8: 024C4D4D
	v_add_f32_e32 v38, v78, v38                                // 000000026CCC: 024C4D4E
	v_add_f32_e32 v38, v79, v38                                // 000000026CD0: 024C4D4F
	s_nop 1                                                    // 000000026CD4: BF800001
	v_rcp_f32_e32 v38, v38                                     // 000000026CD8: 7E4C4526
	s_nop 1                                                    // 000000026CDC: BF800001
	v_mul_f32_e32 v208, v38, v208                              // 000000026CE0: 0BA1A126
	v_mul_f32_e32 v209, v38, v209                              // 000000026CE4: 0BA3A326
	v_mul_f32_e32 v210, v38, v210                              // 000000026CE8: 0BA5A526
	v_mul_f32_e32 v211, v38, v211                              // 000000026CEC: 0BA7A726
	v_mul_f32_e32 v212, v38, v212                              // 000000026CF0: 0BA9A926
	v_mul_f32_e32 v213, v38, v213                              // 000000026CF4: 0BABAB26
	v_mul_f32_e32 v214, v38, v214                              // 000000026CF8: 0BADAD26
	v_mul_f32_e32 v215, v38, v215                              // 000000026CFC: 0BAFAF26
	v_mov_b32_e32 v19, 0xffff0000                              // 000000026D00: 7E2602FF FFFF0000
	v_mov_b32_e32 v20, 0x7fff0000                              // 000000026D08: 7E2802FF 7FFF0000
	v_mov_b32_e32 v21, 0x7fff                                  // 000000026D10: 7E2A02FF 00007FFF
	v_cvt_pkrtz_f16_f32 v64, v208, v209                        // 000000026D18: D2960040 0003A3D0
	v_mov_b32_e32 v208, v64                                    // 000000026D20: 7FA00340
	v_cvt_pkrtz_f16_f32 v64, v210, v211                        // 000000026D24: D2960040 0003A7D2
	v_mov_b32_e32 v209, v64                                    // 000000026D2C: 7FA20340
	v_cvt_pkrtz_f16_f32 v64, v212, v213                        // 000000026D30: D2960040 0003ABD4
	v_mov_b32_e32 v210, v64                                    // 000000026D38: 7FA40340
	v_cvt_pkrtz_f16_f32 v64, v214, v215                        // 000000026D3C: D2960040 0003AFD6
	v_mov_b32_e32 v211, v64                                    // 000000026D44: 7FA60340
	s_nop 1                                                    // 000000026D48: BF800001
	v_lshrrev_b32_e32 v64, 4, v0                               // 000000026D4C: 20800084
	v_mul_i32_i24_e32 v68, 34, v64                             // 000000026D50: 0C8880A2
	v_and_b32_e32 v64, 15, v0                                  // 000000026D54: 2680008F
	v_mul_i32_i24_e32 v65, 2, v64                              // 000000026D58: 0C828082
	v_add_u32_e32 v68, v65, v68                                // 000000026D5C: 68888941
	s_mul_i32 s60, s7, 0x88                                    // 000000026D60: 923CFF07 00000088
	v_add_u32_e32 v68, s60, v68                                // 000000026D68: 6888883C
	v_lshlrev_b32_e32 v68, 2, v68                              // 000000026D6C: 24888882
	ds_write_b64 v68, v[208:209] offset:41472                  // 000000026D70: D89AA200 0000D044
	ds_write_b64 v68, v[210:211] offset:43648                  // 000000026D78: D89AAA80 0000D244
	v_lshrrev_b32_e32 v64, 1, v0                               // 000000026D80: 20800081
	v_mul_i32_i24_e32 v68, 34, v64                             // 000000026D84: 0C8880A2
	v_and_b32_e32 v65, 1, v0                                   // 000000026D88: 26820081
	v_add_u32_e32 v68, v65, v68                                // 000000026D8C: 68888941
	s_mul_i32 s60, s7, 2                                       // 000000026D90: 923C8207
	v_add_u32_e32 v68, s60, v68                                // 000000026D94: 6888883C
	v_lshlrev_b32_e32 v68, 2, v68                              // 000000026D98: 24888882
	s_waitcnt lgkmcnt(0)                                       // 000000026D9C: BF8CC07F
	s_barrier                                                  // 000000026DA0: BF8A0000
	ds_read_b32 v208, v68 offset:41472                         // 000000026DA4: D86CA200 D0000044
	ds_read_b32 v209, v68 offset:41504                         // 000000026DAC: D86CA220 D1000044
	ds_read_b32 v210, v68 offset:41536                         // 000000026DB4: D86CA240 D2000044
	ds_read_b32 v211, v68 offset:41568                         // 000000026DBC: D86CA260 D3000044
	s_mul_i32 s60, s7, 0x100                                   // 000000026DC4: 923CFF07 00000100
	v_lshlrev_b32_e32 v64, 2, v0                               // 000000026DCC: 24800082
	v_add_u32_e64 v64, v64, s60                                // 000000026DD0: D1340040 00007940
	s_waitcnt lgkmcnt(0)                                       // 000000026DD8: BF8CC07F
	buffer_store_dword v208, v64, s[8:11], 0 offen             // 000000026DDC: E0701000 8002D040
	buffer_store_dword v209, v64, s[8:11], 0 offen offset:1024 // 000000026DE4: E0701400 8002D140
	buffer_store_dword v210, v64, s[8:11], 0 offen offset:2048 // 000000026DEC: E0701800 8002D240
	buffer_store_dword v211, v64, s[8:11], 0 offen offset:3072 // 000000026DF4: E0701C00 8002D340
	s_add_u32 s8, s75, s8                                      // 000000026DFC: 8008084B
	s_addc_u32 s9, 0, s9                                       // 000000026E00: 82090980
	v_mul_f32_e32 v216, v50, v216                              // 000000026E04: 0BB1B132
	v_mul_f32_e32 v217, v50, v217                              // 000000026E08: 0BB3B332
	v_mul_f32_e32 v218, v50, v218                              // 000000026E0C: 0BB5B532
	v_mul_f32_e32 v219, v50, v219                              // 000000026E10: 0BB7B732
	v_mul_f32_e32 v220, v50, v220                              // 000000026E14: 0BB9B932
	v_mul_f32_e32 v221, v50, v221                              // 000000026E18: 0BBBBB32
	v_mul_f32_e32 v222, v50, v222                              // 000000026E1C: 0BBDBD32
	v_mul_f32_e32 v223, v50, v223                              // 000000026E20: 0BBFBF32
	v_mul_f32_e32 v184, v45, v184                              // 000000026E24: 0B71712D
	v_mul_f32_e32 v185, v45, v185                              // 000000026E28: 0B73732D
	v_mul_f32_e32 v186, v45, v186                              // 000000026E2C: 0B75752D
	v_mul_f32_e32 v187, v45, v187                              // 000000026E30: 0B77772D
	v_mul_f32_e32 v188, v45, v188                              // 000000026E34: 0B79792D
	v_mul_f32_e32 v189, v45, v189                              // 000000026E38: 0B7B7B2D
	v_mul_f32_e32 v190, v45, v190                              // 000000026E3C: 0B7D7D2D
	v_mul_f32_e32 v191, v45, v191                              // 000000026E40: 0B7F7F2D
	v_add_f32_e32 v216, v216, v184                             // 000000026E44: 03B171D8
	v_add_f32_e32 v217, v217, v185                             // 000000026E48: 03B373D9
	v_add_f32_e32 v218, v218, v186                             // 000000026E4C: 03B575DA
	v_add_f32_e32 v219, v219, v187                             // 000000026E50: 03B777DB
	v_add_f32_e32 v220, v220, v188                             // 000000026E54: 03B979DC
	v_add_f32_e32 v221, v221, v189                             // 000000026E58: 03BB7BDD
	v_add_f32_e32 v222, v222, v190                             // 000000026E5C: 03BD7DDE
	v_add_f32_e32 v223, v223, v191                             // 000000026E60: 03BF7FDF
	ds_write_b32 v8, v39 offset:16896                          // 000000026E64: D81A4200 00002708
	s_waitcnt lgkmcnt(0)                                       // 000000026E6C: BF8CC07F
	s_barrier                                                  // 000000026E70: BF8A0000
	ds_read_b32 v64, v7 offset:16896                           // 000000026E74: D86C4200 40000007
	ds_read_b32 v65, v7 offset:16960                           // 000000026E7C: D86C4240 41000007
	ds_read_b32 v66, v7 offset:17024                           // 000000026E84: D86C4280 42000007
	ds_read_b32 v67, v7 offset:17088                           // 000000026E8C: D86C42C0 43000007
	ds_read_b32 v68, v7 offset:17152                           // 000000026E94: D86C4300 44000007
	ds_read_b32 v69, v7 offset:17216                           // 000000026E9C: D86C4340 45000007
	ds_read_b32 v70, v7 offset:17280                           // 000000026EA4: D86C4380 46000007
	ds_read_b32 v71, v7 offset:17344                           // 000000026EAC: D86C43C0 47000007
	ds_read_b32 v72, v7 offset:17408                           // 000000026EB4: D86C4400 48000007
	ds_read_b32 v73, v7 offset:17472                           // 000000026EBC: D86C4440 49000007
	ds_read_b32 v74, v7 offset:17536                           // 000000026EC4: D86C4480 4A000007
	ds_read_b32 v75, v7 offset:17600                           // 000000026ECC: D86C44C0 4B000007
	ds_read_b32 v76, v7 offset:17664                           // 000000026ED4: D86C4500 4C000007
	ds_read_b32 v77, v7 offset:17728                           // 000000026EDC: D86C4540 4D000007
	ds_read_b32 v78, v7 offset:17792                           // 000000026EE4: D86C4580 4E000007
	ds_read_b32 v79, v7 offset:17856                           // 000000026EEC: D86C45C0 4F000007
	s_waitcnt lgkmcnt(0)                                       // 000000026EF4: BF8CC07F
	v_mov_b32_e32 v39, 0                                       // 000000026EF8: 7E4E0280
	v_add_f32_e32 v39, v64, v39                                // 000000026EFC: 024E4F40
	v_add_f32_e32 v39, v65, v39                                // 000000026F00: 024E4F41
	v_add_f32_e32 v39, v66, v39                                // 000000026F04: 024E4F42
	v_add_f32_e32 v39, v67, v39                                // 000000026F08: 024E4F43
	v_add_f32_e32 v39, v68, v39                                // 000000026F0C: 024E4F44
	v_add_f32_e32 v39, v69, v39                                // 000000026F10: 024E4F45
	v_add_f32_e32 v39, v70, v39                                // 000000026F14: 024E4F46
	v_add_f32_e32 v39, v71, v39                                // 000000026F18: 024E4F47
	v_add_f32_e32 v39, v72, v39                                // 000000026F1C: 024E4F48
	v_add_f32_e32 v39, v73, v39                                // 000000026F20: 024E4F49
	v_add_f32_e32 v39, v74, v39                                // 000000026F24: 024E4F4A
	v_add_f32_e32 v39, v75, v39                                // 000000026F28: 024E4F4B
	v_add_f32_e32 v39, v76, v39                                // 000000026F2C: 024E4F4C
	v_add_f32_e32 v39, v77, v39                                // 000000026F30: 024E4F4D
	v_add_f32_e32 v39, v78, v39                                // 000000026F34: 024E4F4E
	v_add_f32_e32 v39, v79, v39                                // 000000026F38: 024E4F4F
	s_nop 1                                                    // 000000026F3C: BF800001
	v_rcp_f32_e32 v39, v39                                     // 000000026F40: 7E4E4527
	s_nop 1                                                    // 000000026F44: BF800001
	v_mul_f32_e32 v216, v39, v216                              // 000000026F48: 0BB1B127
	v_mul_f32_e32 v217, v39, v217                              // 000000026F4C: 0BB3B327
	v_mul_f32_e32 v218, v39, v218                              // 000000026F50: 0BB5B527
	v_mul_f32_e32 v219, v39, v219                              // 000000026F54: 0BB7B727
	v_mul_f32_e32 v220, v39, v220                              // 000000026F58: 0BB9B927
	v_mul_f32_e32 v221, v39, v221                              // 000000026F5C: 0BBBBB27
	v_mul_f32_e32 v222, v39, v222                              // 000000026F60: 0BBDBD27
	v_mul_f32_e32 v223, v39, v223                              // 000000026F64: 0BBFBF27
	v_mov_b32_e32 v19, 0xffff0000                              // 000000026F68: 7E2602FF FFFF0000
	v_mov_b32_e32 v20, 0x7fff0000                              // 000000026F70: 7E2802FF 7FFF0000
	v_mov_b32_e32 v21, 0x7fff                                  // 000000026F78: 7E2A02FF 00007FFF
	v_cvt_pkrtz_f16_f32 v64, v216, v217                        // 000000026F80: D2960040 0003B3D8
	v_mov_b32_e32 v216, v64                                    // 000000026F88: 7FB00340
	v_cvt_pkrtz_f16_f32 v64, v218, v219                        // 000000026F8C: D2960040 0003B7DA
	v_mov_b32_e32 v217, v64                                    // 000000026F94: 7FB20340
	v_cvt_pkrtz_f16_f32 v64, v220, v221                        // 000000026F98: D2960040 0003BBDC
	v_mov_b32_e32 v218, v64                                    // 000000026FA0: 7FB40340
	v_cvt_pkrtz_f16_f32 v64, v222, v223                        // 000000026FA4: D2960040 0003BFDE
	v_mov_b32_e32 v219, v64                                    // 000000026FAC: 7FB60340
	s_nop 1                                                    // 000000026FB0: BF800001
	v_lshrrev_b32_e32 v64, 4, v0                               // 000000026FB4: 20800084
	v_mul_i32_i24_e32 v68, 34, v64                             // 000000026FB8: 0C8880A2
	v_and_b32_e32 v64, 15, v0                                  // 000000026FBC: 2680008F
	v_mul_i32_i24_e32 v65, 2, v64                              // 000000026FC0: 0C828082
	v_add_u32_e32 v68, v65, v68                                // 000000026FC4: 68888941
	s_mul_i32 s60, s7, 0x88                                    // 000000026FC8: 923CFF07 00000088
	v_add_u32_e32 v68, s60, v68                                // 000000026FD0: 6888883C
	v_lshlrev_b32_e32 v68, 2, v68                              // 000000026FD4: 24888882
	ds_write_b64 v68, v[216:217] offset:41472                  // 000000026FD8: D89AA200 0000D844
	ds_write_b64 v68, v[218:219] offset:43648                  // 000000026FE0: D89AAA80 0000DA44
	v_lshrrev_b32_e32 v64, 1, v0                               // 000000026FE8: 20800081
	v_mul_i32_i24_e32 v68, 34, v64                             // 000000026FEC: 0C8880A2
	v_and_b32_e32 v65, 1, v0                                   // 000000026FF0: 26820081
	v_add_u32_e32 v68, v65, v68                                // 000000026FF4: 68888941
	s_mul_i32 s60, s7, 2                                       // 000000026FF8: 923C8207
	v_add_u32_e32 v68, s60, v68                                // 000000026FFC: 6888883C
	v_lshlrev_b32_e32 v68, 2, v68                              // 000000027000: 24888882
	s_waitcnt lgkmcnt(0)                                       // 000000027004: BF8CC07F
	s_barrier                                                  // 000000027008: BF8A0000
	ds_read_b32 v216, v68 offset:41472                         // 00000002700C: D86CA200 D8000044
	ds_read_b32 v217, v68 offset:41504                         // 000000027014: D86CA220 D9000044
	ds_read_b32 v218, v68 offset:41536                         // 00000002701C: D86CA240 DA000044
	ds_read_b32 v219, v68 offset:41568                         // 000000027024: D86CA260 DB000044
	s_mul_i32 s60, s7, 0x100                                   // 00000002702C: 923CFF07 00000100
	v_lshlrev_b32_e32 v64, 2, v0                               // 000000027034: 24800082
	v_add_u32_e64 v64, v64, s60                                // 000000027038: D1340040 00007940
	s_waitcnt lgkmcnt(0)                                       // 000000027040: BF8CC07F
	buffer_store_dword v216, v64, s[8:11], 0 offen             // 000000027044: E0701000 8002D840
	buffer_store_dword v217, v64, s[8:11], 0 offen offset:1024 // 00000002704C: E0701400 8002D940
	buffer_store_dword v218, v64, s[8:11], 0 offen offset:2048 // 000000027054: E0701800 8002DA40
	buffer_store_dword v219, v64, s[8:11], 0 offen offset:3072 // 00000002705C: E0701C00 8002DB40
	s_add_u32 s8, s75, s8                                      // 000000027064: 8008084B
	s_addc_u32 s9, 0, s9                                       // 000000027068: 82090980
	v_mul_f32_e32 v224, v51, v224                              // 00000002706C: 0BC1C133
	v_mul_f32_e32 v225, v51, v225                              // 000000027070: 0BC3C333
	v_mul_f32_e32 v226, v51, v226                              // 000000027074: 0BC5C533
	v_mul_f32_e32 v227, v51, v227                              // 000000027078: 0BC7C733
	v_mul_f32_e32 v228, v51, v228                              // 00000002707C: 0BC9C933
	v_mul_f32_e32 v229, v51, v229                              // 000000027080: 0BCBCB33
	v_mul_f32_e32 v230, v51, v230                              // 000000027084: 0BCDCD33
	v_mul_f32_e32 v231, v51, v231                              // 000000027088: 0BCFCF33
	v_mul_f32_e32 v192, v46, v192                              // 00000002708C: 0B81812E
	v_mul_f32_e32 v193, v46, v193                              // 000000027090: 0B83832E
	v_mul_f32_e32 v194, v46, v194                              // 000000027094: 0B85852E
	v_mul_f32_e32 v195, v46, v195                              // 000000027098: 0B87872E
	v_mul_f32_e32 v196, v46, v196                              // 00000002709C: 0B89892E
	v_mul_f32_e32 v197, v46, v197                              // 0000000270A0: 0B8B8B2E
	v_mul_f32_e32 v198, v46, v198                              // 0000000270A4: 0B8D8D2E
	v_mul_f32_e32 v199, v46, v199                              // 0000000270A8: 0B8F8F2E
	v_add_f32_e32 v224, v224, v192                             // 0000000270AC: 03C181E0
	v_add_f32_e32 v225, v225, v193                             // 0000000270B0: 03C383E1
	v_add_f32_e32 v226, v226, v194                             // 0000000270B4: 03C585E2
	v_add_f32_e32 v227, v227, v195                             // 0000000270B8: 03C787E3
	v_add_f32_e32 v228, v228, v196                             // 0000000270BC: 03C989E4
	v_add_f32_e32 v229, v229, v197                             // 0000000270C0: 03CB8BE5
	v_add_f32_e32 v230, v230, v198                             // 0000000270C4: 03CD8DE6
	v_add_f32_e32 v231, v231, v199                             // 0000000270C8: 03CF8FE7
	ds_write_b32 v8, v40 offset:16896                          // 0000000270CC: D81A4200 00002808
	s_waitcnt lgkmcnt(0)                                       // 0000000270D4: BF8CC07F
	s_barrier                                                  // 0000000270D8: BF8A0000
	ds_read_b32 v64, v7 offset:16896                           // 0000000270DC: D86C4200 40000007
	ds_read_b32 v65, v7 offset:16960                           // 0000000270E4: D86C4240 41000007
	ds_read_b32 v66, v7 offset:17024                           // 0000000270EC: D86C4280 42000007
	ds_read_b32 v67, v7 offset:17088                           // 0000000270F4: D86C42C0 43000007
	ds_read_b32 v68, v7 offset:17152                           // 0000000270FC: D86C4300 44000007
	ds_read_b32 v69, v7 offset:17216                           // 000000027104: D86C4340 45000007
	ds_read_b32 v70, v7 offset:17280                           // 00000002710C: D86C4380 46000007
	ds_read_b32 v71, v7 offset:17344                           // 000000027114: D86C43C0 47000007
	ds_read_b32 v72, v7 offset:17408                           // 00000002711C: D86C4400 48000007
	ds_read_b32 v73, v7 offset:17472                           // 000000027124: D86C4440 49000007
	ds_read_b32 v74, v7 offset:17536                           // 00000002712C: D86C4480 4A000007
	ds_read_b32 v75, v7 offset:17600                           // 000000027134: D86C44C0 4B000007
	ds_read_b32 v76, v7 offset:17664                           // 00000002713C: D86C4500 4C000007
	ds_read_b32 v77, v7 offset:17728                           // 000000027144: D86C4540 4D000007
	ds_read_b32 v78, v7 offset:17792                           // 00000002714C: D86C4580 4E000007
	ds_read_b32 v79, v7 offset:17856                           // 000000027154: D86C45C0 4F000007
	s_waitcnt lgkmcnt(0)                                       // 00000002715C: BF8CC07F
	v_mov_b32_e32 v40, 0                                       // 000000027160: 7E500280
	v_add_f32_e32 v40, v64, v40                                // 000000027164: 02505140
	v_add_f32_e32 v40, v65, v40                                // 000000027168: 02505141
	v_add_f32_e32 v40, v66, v40                                // 00000002716C: 02505142
	v_add_f32_e32 v40, v67, v40                                // 000000027170: 02505143
	v_add_f32_e32 v40, v68, v40                                // 000000027174: 02505144
	;; [unrolled: 1-line block ×3, first 2 shown]
	v_add_f32_e32 v40, v70, v40                                // 00000002717C: 02505146
	v_add_f32_e32 v40, v71, v40                                // 000000027180: 02505147
	v_add_f32_e32 v40, v72, v40                                // 000000027184: 02505148
	;; [unrolled: 1-line block ×3, first 2 shown]
	v_add_f32_e32 v40, v74, v40                                // 00000002718C: 0250514A
	v_add_f32_e32 v40, v75, v40                                // 000000027190: 0250514B
	v_add_f32_e32 v40, v76, v40                                // 000000027194: 0250514C
	v_add_f32_e32 v40, v77, v40                                // 000000027198: 0250514D
	v_add_f32_e32 v40, v78, v40                                // 00000002719C: 0250514E
	v_add_f32_e32 v40, v79, v40                                // 0000000271A0: 0250514F
	s_nop 1                                                    // 0000000271A4: BF800001
	v_rcp_f32_e32 v40, v40                                     // 0000000271A8: 7E504528
	s_nop 1                                                    // 0000000271AC: BF800001
	v_mul_f32_e32 v224, v40, v224                              // 0000000271B0: 0BC1C128
	v_mul_f32_e32 v225, v40, v225                              // 0000000271B4: 0BC3C328
	v_mul_f32_e32 v226, v40, v226                              // 0000000271B8: 0BC5C528
	v_mul_f32_e32 v227, v40, v227                              // 0000000271BC: 0BC7C728
	v_mul_f32_e32 v228, v40, v228                              // 0000000271C0: 0BC9C928
	v_mul_f32_e32 v229, v40, v229                              // 0000000271C4: 0BCBCB28
	v_mul_f32_e32 v230, v40, v230                              // 0000000271C8: 0BCDCD28
	v_mul_f32_e32 v231, v40, v231                              // 0000000271CC: 0BCFCF28
	v_mov_b32_e32 v19, 0xffff0000                              // 0000000271D0: 7E2602FF FFFF0000
	v_mov_b32_e32 v20, 0x7fff0000                              // 0000000271D8: 7E2802FF 7FFF0000
	v_mov_b32_e32 v21, 0x7fff                                  // 0000000271E0: 7E2A02FF 00007FFF
	v_cvt_pkrtz_f16_f32 v64, v224, v225                        // 0000000271E8: D2960040 0003C3E0
	v_mov_b32_e32 v224, v64                                    // 0000000271F0: 7FC00340
	v_cvt_pkrtz_f16_f32 v64, v226, v227                        // 0000000271F4: D2960040 0003C7E2
	v_mov_b32_e32 v225, v64                                    // 0000000271FC: 7FC20340
	v_cvt_pkrtz_f16_f32 v64, v228, v229                        // 000000027200: D2960040 0003CBE4
	v_mov_b32_e32 v226, v64                                    // 000000027208: 7FC40340
	v_cvt_pkrtz_f16_f32 v64, v230, v231                        // 00000002720C: D2960040 0003CFE6
	v_mov_b32_e32 v227, v64                                    // 000000027214: 7FC60340
	s_nop 1                                                    // 000000027218: BF800001
	v_lshrrev_b32_e32 v64, 4, v0                               // 00000002721C: 20800084
	v_mul_i32_i24_e32 v68, 34, v64                             // 000000027220: 0C8880A2
	v_and_b32_e32 v64, 15, v0                                  // 000000027224: 2680008F
	v_mul_i32_i24_e32 v65, 2, v64                              // 000000027228: 0C828082
	v_add_u32_e32 v68, v65, v68                                // 00000002722C: 68888941
	s_mul_i32 s60, s7, 0x88                                    // 000000027230: 923CFF07 00000088
	v_add_u32_e32 v68, s60, v68                                // 000000027238: 6888883C
	v_lshlrev_b32_e32 v68, 2, v68                              // 00000002723C: 24888882
	ds_write_b64 v68, v[224:225] offset:41472                  // 000000027240: D89AA200 0000E044
	ds_write_b64 v68, v[226:227] offset:43648                  // 000000027248: D89AAA80 0000E244
	v_lshrrev_b32_e32 v64, 1, v0                               // 000000027250: 20800081
	v_mul_i32_i24_e32 v68, 34, v64                             // 000000027254: 0C8880A2
	v_and_b32_e32 v65, 1, v0                                   // 000000027258: 26820081
	v_add_u32_e32 v68, v65, v68                                // 00000002725C: 68888941
	s_mul_i32 s60, s7, 2                                       // 000000027260: 923C8207
	v_add_u32_e32 v68, s60, v68                                // 000000027264: 6888883C
	v_lshlrev_b32_e32 v68, 2, v68                              // 000000027268: 24888882
	s_waitcnt lgkmcnt(0)                                       // 00000002726C: BF8CC07F
	s_barrier                                                  // 000000027270: BF8A0000
	ds_read_b32 v224, v68 offset:41472                         // 000000027274: D86CA200 E0000044
	ds_read_b32 v225, v68 offset:41504                         // 00000002727C: D86CA220 E1000044
	ds_read_b32 v226, v68 offset:41536                         // 000000027284: D86CA240 E2000044
	ds_read_b32 v227, v68 offset:41568                         // 00000002728C: D86CA260 E3000044
	s_mul_i32 s60, s7, 0x100                                   // 000000027294: 923CFF07 00000100
	v_lshlrev_b32_e32 v64, 2, v0                               // 00000002729C: 24800082
	v_add_u32_e64 v64, v64, s60                                // 0000000272A0: D1340040 00007940
	s_waitcnt lgkmcnt(0)                                       // 0000000272A8: BF8CC07F
	buffer_store_dword v224, v64, s[8:11], 0 offen             // 0000000272AC: E0701000 8002E040
	buffer_store_dword v225, v64, s[8:11], 0 offen offset:1024 // 0000000272B4: E0701400 8002E140
	buffer_store_dword v226, v64, s[8:11], 0 offen offset:2048 // 0000000272BC: E0701800 8002E240
	buffer_store_dword v227, v64, s[8:11], 0 offen offset:3072 // 0000000272C4: E0701C00 8002E340
	s_add_u32 s8, s75, s8                                      // 0000000272CC: 8008084B
	s_addc_u32 s9, 0, s9                                       // 0000000272D0: 82090980
	v_mul_f32_e32 v232, v52, v232                              // 0000000272D4: 0BD1D134
	v_mul_f32_e32 v233, v52, v233                              // 0000000272D8: 0BD3D334
	v_mul_f32_e32 v234, v52, v234                              // 0000000272DC: 0BD5D534
	v_mul_f32_e32 v235, v52, v235                              // 0000000272E0: 0BD7D734
	v_mul_f32_e32 v236, v52, v236                              // 0000000272E4: 0BD9D934
	v_mul_f32_e32 v237, v52, v237                              // 0000000272E8: 0BDBDB34
	v_mul_f32_e32 v238, v52, v238                              // 0000000272EC: 0BDDDD34
	v_mul_f32_e32 v239, v52, v239                              // 0000000272F0: 0BDFDF34
	v_mul_f32_e32 v200, v47, v200                              // 0000000272F4: 0B91912F
	v_mul_f32_e32 v201, v47, v201                              // 0000000272F8: 0B93932F
	v_mul_f32_e32 v202, v47, v202                              // 0000000272FC: 0B95952F
	v_mul_f32_e32 v203, v47, v203                              // 000000027300: 0B97972F
	v_mul_f32_e32 v204, v47, v204                              // 000000027304: 0B99992F
	v_mul_f32_e32 v205, v47, v205                              // 000000027308: 0B9B9B2F
	v_mul_f32_e32 v206, v47, v206                              // 00000002730C: 0B9D9D2F
	v_mul_f32_e32 v207, v47, v207                              // 000000027310: 0B9F9F2F
	v_add_f32_e32 v232, v232, v200                             // 000000027314: 03D191E8
	v_add_f32_e32 v233, v233, v201                             // 000000027318: 03D393E9
	v_add_f32_e32 v234, v234, v202                             // 00000002731C: 03D595EA
	v_add_f32_e32 v235, v235, v203                             // 000000027320: 03D797EB
	v_add_f32_e32 v236, v236, v204                             // 000000027324: 03D999EC
	v_add_f32_e32 v237, v237, v205                             // 000000027328: 03DB9BED
	v_add_f32_e32 v238, v238, v206                             // 00000002732C: 03DD9DEE
	v_add_f32_e32 v239, v239, v207                             // 000000027330: 03DF9FEF
	ds_write_b32 v8, v41 offset:16896                          // 000000027334: D81A4200 00002908
	s_waitcnt lgkmcnt(0)                                       // 00000002733C: BF8CC07F
	s_barrier                                                  // 000000027340: BF8A0000
	ds_read_b32 v64, v7 offset:16896                           // 000000027344: D86C4200 40000007
	ds_read_b32 v65, v7 offset:16960                           // 00000002734C: D86C4240 41000007
	ds_read_b32 v66, v7 offset:17024                           // 000000027354: D86C4280 42000007
	ds_read_b32 v67, v7 offset:17088                           // 00000002735C: D86C42C0 43000007
	ds_read_b32 v68, v7 offset:17152                           // 000000027364: D86C4300 44000007
	ds_read_b32 v69, v7 offset:17216                           // 00000002736C: D86C4340 45000007
	ds_read_b32 v70, v7 offset:17280                           // 000000027374: D86C4380 46000007
	ds_read_b32 v71, v7 offset:17344                           // 00000002737C: D86C43C0 47000007
	ds_read_b32 v72, v7 offset:17408                           // 000000027384: D86C4400 48000007
	ds_read_b32 v73, v7 offset:17472                           // 00000002738C: D86C4440 49000007
	ds_read_b32 v74, v7 offset:17536                           // 000000027394: D86C4480 4A000007
	ds_read_b32 v75, v7 offset:17600                           // 00000002739C: D86C44C0 4B000007
	ds_read_b32 v76, v7 offset:17664                           // 0000000273A4: D86C4500 4C000007
	ds_read_b32 v77, v7 offset:17728                           // 0000000273AC: D86C4540 4D000007
	ds_read_b32 v78, v7 offset:17792                           // 0000000273B4: D86C4580 4E000007
	ds_read_b32 v79, v7 offset:17856                           // 0000000273BC: D86C45C0 4F000007
	s_waitcnt lgkmcnt(0)                                       // 0000000273C4: BF8CC07F
	v_mov_b32_e32 v41, 0                                       // 0000000273C8: 7E520280
	v_add_f32_e32 v41, v64, v41                                // 0000000273CC: 02525340
	v_add_f32_e32 v41, v65, v41                                // 0000000273D0: 02525341
	v_add_f32_e32 v41, v66, v41                                // 0000000273D4: 02525342
	v_add_f32_e32 v41, v67, v41                                // 0000000273D8: 02525343
	v_add_f32_e32 v41, v68, v41                                // 0000000273DC: 02525344
	v_add_f32_e32 v41, v69, v41                                // 0000000273E0: 02525345
	v_add_f32_e32 v41, v70, v41                                // 0000000273E4: 02525346
	v_add_f32_e32 v41, v71, v41                                // 0000000273E8: 02525347
	v_add_f32_e32 v41, v72, v41                                // 0000000273EC: 02525348
	v_add_f32_e32 v41, v73, v41                                // 0000000273F0: 02525349
	v_add_f32_e32 v41, v74, v41                                // 0000000273F4: 0252534A
	v_add_f32_e32 v41, v75, v41                                // 0000000273F8: 0252534B
	v_add_f32_e32 v41, v76, v41                                // 0000000273FC: 0252534C
	v_add_f32_e32 v41, v77, v41                                // 000000027400: 0252534D
	v_add_f32_e32 v41, v78, v41                                // 000000027404: 0252534E
	v_add_f32_e32 v41, v79, v41                                // 000000027408: 0252534F
	s_nop 1                                                    // 00000002740C: BF800001
	v_rcp_f32_e32 v41, v41                                     // 000000027410: 7E524529
	s_nop 1                                                    // 000000027414: BF800001
	v_mul_f32_e32 v232, v41, v232                              // 000000027418: 0BD1D129
	v_mul_f32_e32 v233, v41, v233                              // 00000002741C: 0BD3D329
	v_mul_f32_e32 v234, v41, v234                              // 000000027420: 0BD5D529
	v_mul_f32_e32 v235, v41, v235                              // 000000027424: 0BD7D729
	v_mul_f32_e32 v236, v41, v236                              // 000000027428: 0BD9D929
	v_mul_f32_e32 v237, v41, v237                              // 00000002742C: 0BDBDB29
	v_mul_f32_e32 v238, v41, v238                              // 000000027430: 0BDDDD29
	v_mul_f32_e32 v239, v41, v239                              // 000000027434: 0BDFDF29
	v_mov_b32_e32 v19, 0xffff0000                              // 000000027438: 7E2602FF FFFF0000
	v_mov_b32_e32 v20, 0x7fff0000                              // 000000027440: 7E2802FF 7FFF0000
	v_mov_b32_e32 v21, 0x7fff                                  // 000000027448: 7E2A02FF 00007FFF
	v_cvt_pkrtz_f16_f32 v64, v232, v233                        // 000000027450: D2960040 0003D3E8
	v_mov_b32_e32 v232, v64                                    // 000000027458: 7FD00340
	v_cvt_pkrtz_f16_f32 v64, v234, v235                        // 00000002745C: D2960040 0003D7EA
	v_mov_b32_e32 v233, v64                                    // 000000027464: 7FD20340
	v_cvt_pkrtz_f16_f32 v64, v236, v237                        // 000000027468: D2960040 0003DBEC
	v_mov_b32_e32 v234, v64                                    // 000000027470: 7FD40340
	v_cvt_pkrtz_f16_f32 v64, v238, v239                        // 000000027474: D2960040 0003DFEE
	v_mov_b32_e32 v235, v64                                    // 00000002747C: 7FD60340
	s_nop 1                                                    // 000000027480: BF800001
	v_lshrrev_b32_e32 v64, 4, v0                               // 000000027484: 20800084
	v_mul_i32_i24_e32 v68, 34, v64                             // 000000027488: 0C8880A2
	v_and_b32_e32 v64, 15, v0                                  // 00000002748C: 2680008F
	v_mul_i32_i24_e32 v65, 2, v64                              // 000000027490: 0C828082
	v_add_u32_e32 v68, v65, v68                                // 000000027494: 68888941
	s_mul_i32 s60, s7, 0x88                                    // 000000027498: 923CFF07 00000088
	v_add_u32_e32 v68, s60, v68                                // 0000000274A0: 6888883C
	v_lshlrev_b32_e32 v68, 2, v68                              // 0000000274A4: 24888882
	ds_write_b64 v68, v[232:233] offset:41472                  // 0000000274A8: D89AA200 0000E844
	ds_write_b64 v68, v[234:235] offset:43648                  // 0000000274B0: D89AAA80 0000EA44
	v_lshrrev_b32_e32 v64, 1, v0                               // 0000000274B8: 20800081
	v_mul_i32_i24_e32 v68, 34, v64                             // 0000000274BC: 0C8880A2
	v_and_b32_e32 v65, 1, v0                                   // 0000000274C0: 26820081
	v_add_u32_e32 v68, v65, v68                                // 0000000274C4: 68888941
	s_mul_i32 s60, s7, 2                                       // 0000000274C8: 923C8207
	v_add_u32_e32 v68, s60, v68                                // 0000000274CC: 6888883C
	v_lshlrev_b32_e32 v68, 2, v68                              // 0000000274D0: 24888882
	s_waitcnt lgkmcnt(0)                                       // 0000000274D4: BF8CC07F
	s_barrier                                                  // 0000000274D8: BF8A0000
	ds_read_b32 v232, v68 offset:41472                         // 0000000274DC: D86CA200 E8000044
	ds_read_b32 v233, v68 offset:41504                         // 0000000274E4: D86CA220 E9000044
	ds_read_b32 v234, v68 offset:41536                         // 0000000274EC: D86CA240 EA000044
	ds_read_b32 v235, v68 offset:41568                         // 0000000274F4: D86CA260 EB000044
	s_mul_i32 s60, s7, 0x100                                   // 0000000274FC: 923CFF07 00000100
	v_lshlrev_b32_e32 v64, 2, v0                               // 000000027504: 24800082
	v_add_u32_e64 v64, v64, s60                                // 000000027508: D1340040 00007940
	s_waitcnt lgkmcnt(0)                                       // 000000027510: BF8CC07F
	buffer_store_dword v232, v64, s[8:11], 0 offen             // 000000027514: E0701000 8002E840
	buffer_store_dword v233, v64, s[8:11], 0 offen offset:1024 // 00000002751C: E0701400 8002E940
	buffer_store_dword v234, v64, s[8:11], 0 offen offset:2048 // 000000027524: E0701800 8002EA40
	buffer_store_dword v235, v64, s[8:11], 0 offen offset:3072 // 00000002752C: E0701C00 8002EB40
	s_add_u32 s8, s75, s8                                      // 000000027534: 8008084B
	s_addc_u32 s9, 0, s9                                       // 000000027538: 82090980
	s_branch label_94D0                                        // 00000002753C: BF820000

0000000000027540 <label_94D0>:
	s_waitcnt vmcnt(0) expcnt(0) lgkmcnt(0)                    // 000000027540: BF8C0000
	s_endpgm                                                   // 000000027544: BF810000
